;; amdgpu-corpus repo=ROCm/rocFFT kind=compiled arch=gfx1201 opt=O3
	.text
	.amdgcn_target "amdgcn-amd-amdhsa--gfx1201"
	.amdhsa_code_object_version 6
	.protected	fft_rtc_back_len3200_factors_10_10_4_4_2_wgs_160_tpt_160_halfLds_dp_ip_CI_sbrr_dirReg ; -- Begin function fft_rtc_back_len3200_factors_10_10_4_4_2_wgs_160_tpt_160_halfLds_dp_ip_CI_sbrr_dirReg
	.globl	fft_rtc_back_len3200_factors_10_10_4_4_2_wgs_160_tpt_160_halfLds_dp_ip_CI_sbrr_dirReg
	.p2align	8
	.type	fft_rtc_back_len3200_factors_10_10_4_4_2_wgs_160_tpt_160_halfLds_dp_ip_CI_sbrr_dirReg,@function
fft_rtc_back_len3200_factors_10_10_4_4_2_wgs_160_tpt_160_halfLds_dp_ip_CI_sbrr_dirReg: ; @fft_rtc_back_len3200_factors_10_10_4_4_2_wgs_160_tpt_160_halfLds_dp_ip_CI_sbrr_dirReg
; %bb.0:
	s_clause 0x2
	s_load_b64 s[12:13], s[0:1], 0x18
	s_load_b128 s[4:7], s[0:1], 0x0
	s_load_b64 s[10:11], s[0:1], 0x50
	v_mul_u32_u24_e32 v1, 0x19a, v0
	v_mov_b32_e32 v3, 0
	s_delay_alu instid0(VALU_DEP_2) | instskip(NEXT) | instid1(VALU_DEP_1)
	v_lshrrev_b32_e32 v1, 16, v1
	v_add_nc_u32_e32 v5, ttmp9, v1
	v_mov_b32_e32 v1, 0
	v_mov_b32_e32 v2, 0
	;; [unrolled: 1-line block ×3, first 2 shown]
	s_wait_kmcnt 0x0
	s_load_b64 s[8:9], s[12:13], 0x0
	v_cmp_lt_u64_e64 s2, s[6:7], 2
	s_delay_alu instid0(VALU_DEP_1)
	s_and_b32 vcc_lo, exec_lo, s2
	s_cbranch_vccnz .LBB0_8
; %bb.1:
	s_load_b64 s[2:3], s[0:1], 0x10
	v_mov_b32_e32 v1, 0
	v_mov_b32_e32 v2, 0
	s_add_nc_u64 s[14:15], s[12:13], 8
	s_mov_b64 s[16:17], 1
	s_wait_kmcnt 0x0
	s_add_nc_u64 s[18:19], s[2:3], 8
	s_mov_b32 s3, 0
.LBB0_2:                                ; =>This Inner Loop Header: Depth=1
	s_load_b64 s[20:21], s[18:19], 0x0
                                        ; implicit-def: $vgpr7_vgpr8
	s_mov_b32 s2, exec_lo
	s_wait_kmcnt 0x0
	v_or_b32_e32 v4, s21, v6
	s_delay_alu instid0(VALU_DEP_1)
	v_cmpx_ne_u64_e32 0, v[3:4]
	s_wait_alu 0xfffe
	s_xor_b32 s22, exec_lo, s2
	s_cbranch_execz .LBB0_4
; %bb.3:                                ;   in Loop: Header=BB0_2 Depth=1
	s_cvt_f32_u32 s2, s20
	s_cvt_f32_u32 s23, s21
	s_sub_nc_u64 s[26:27], 0, s[20:21]
	s_wait_alu 0xfffe
	s_delay_alu instid0(SALU_CYCLE_1) | instskip(SKIP_1) | instid1(SALU_CYCLE_2)
	s_fmamk_f32 s2, s23, 0x4f800000, s2
	s_wait_alu 0xfffe
	v_s_rcp_f32 s2, s2
	s_delay_alu instid0(TRANS32_DEP_1) | instskip(SKIP_1) | instid1(SALU_CYCLE_2)
	s_mul_f32 s2, s2, 0x5f7ffffc
	s_wait_alu 0xfffe
	s_mul_f32 s23, s2, 0x2f800000
	s_wait_alu 0xfffe
	s_delay_alu instid0(SALU_CYCLE_2) | instskip(SKIP_1) | instid1(SALU_CYCLE_2)
	s_trunc_f32 s23, s23
	s_wait_alu 0xfffe
	s_fmamk_f32 s2, s23, 0xcf800000, s2
	s_cvt_u32_f32 s25, s23
	s_wait_alu 0xfffe
	s_delay_alu instid0(SALU_CYCLE_1) | instskip(SKIP_1) | instid1(SALU_CYCLE_2)
	s_cvt_u32_f32 s24, s2
	s_wait_alu 0xfffe
	s_mul_u64 s[28:29], s[26:27], s[24:25]
	s_wait_alu 0xfffe
	s_mul_hi_u32 s31, s24, s29
	s_mul_i32 s30, s24, s29
	s_mul_hi_u32 s2, s24, s28
	s_mul_i32 s33, s25, s28
	s_wait_alu 0xfffe
	s_add_nc_u64 s[30:31], s[2:3], s[30:31]
	s_mul_hi_u32 s23, s25, s28
	s_mul_hi_u32 s34, s25, s29
	s_add_co_u32 s2, s30, s33
	s_wait_alu 0xfffe
	s_add_co_ci_u32 s2, s31, s23
	s_mul_i32 s28, s25, s29
	s_add_co_ci_u32 s29, s34, 0
	s_wait_alu 0xfffe
	s_add_nc_u64 s[28:29], s[2:3], s[28:29]
	s_wait_alu 0xfffe
	v_add_co_u32 v4, s2, s24, s28
	s_delay_alu instid0(VALU_DEP_1) | instskip(SKIP_1) | instid1(VALU_DEP_1)
	s_cmp_lg_u32 s2, 0
	s_add_co_ci_u32 s25, s25, s29
	v_readfirstlane_b32 s24, v4
	s_wait_alu 0xfffe
	s_delay_alu instid0(VALU_DEP_1)
	s_mul_u64 s[26:27], s[26:27], s[24:25]
	s_wait_alu 0xfffe
	s_mul_hi_u32 s29, s24, s27
	s_mul_i32 s28, s24, s27
	s_mul_hi_u32 s2, s24, s26
	s_mul_i32 s30, s25, s26
	s_wait_alu 0xfffe
	s_add_nc_u64 s[28:29], s[2:3], s[28:29]
	s_mul_hi_u32 s23, s25, s26
	s_mul_hi_u32 s24, s25, s27
	s_wait_alu 0xfffe
	s_add_co_u32 s2, s28, s30
	s_add_co_ci_u32 s2, s29, s23
	s_mul_i32 s26, s25, s27
	s_add_co_ci_u32 s27, s24, 0
	s_wait_alu 0xfffe
	s_add_nc_u64 s[26:27], s[2:3], s[26:27]
	s_wait_alu 0xfffe
	v_add_co_u32 v4, s2, v4, s26
	s_delay_alu instid0(VALU_DEP_1) | instskip(SKIP_1) | instid1(VALU_DEP_1)
	s_cmp_lg_u32 s2, 0
	s_add_co_ci_u32 s2, s25, s27
	v_mul_hi_u32 v13, v5, v4
	s_wait_alu 0xfffe
	v_mad_co_u64_u32 v[7:8], null, v5, s2, 0
	v_mad_co_u64_u32 v[9:10], null, v6, v4, 0
	;; [unrolled: 1-line block ×3, first 2 shown]
	s_delay_alu instid0(VALU_DEP_3) | instskip(SKIP_1) | instid1(VALU_DEP_4)
	v_add_co_u32 v4, vcc_lo, v13, v7
	s_wait_alu 0xfffd
	v_add_co_ci_u32_e32 v7, vcc_lo, 0, v8, vcc_lo
	s_delay_alu instid0(VALU_DEP_2) | instskip(SKIP_1) | instid1(VALU_DEP_2)
	v_add_co_u32 v4, vcc_lo, v4, v9
	s_wait_alu 0xfffd
	v_add_co_ci_u32_e32 v4, vcc_lo, v7, v10, vcc_lo
	s_wait_alu 0xfffd
	v_add_co_ci_u32_e32 v7, vcc_lo, 0, v12, vcc_lo
	s_delay_alu instid0(VALU_DEP_2) | instskip(SKIP_1) | instid1(VALU_DEP_2)
	v_add_co_u32 v4, vcc_lo, v4, v11
	s_wait_alu 0xfffd
	v_add_co_ci_u32_e32 v9, vcc_lo, 0, v7, vcc_lo
	s_delay_alu instid0(VALU_DEP_2) | instskip(SKIP_1) | instid1(VALU_DEP_3)
	v_mul_lo_u32 v10, s21, v4
	v_mad_co_u64_u32 v[7:8], null, s20, v4, 0
	v_mul_lo_u32 v11, s20, v9
	s_delay_alu instid0(VALU_DEP_2) | instskip(NEXT) | instid1(VALU_DEP_2)
	v_sub_co_u32 v7, vcc_lo, v5, v7
	v_add3_u32 v8, v8, v11, v10
	s_delay_alu instid0(VALU_DEP_1) | instskip(SKIP_1) | instid1(VALU_DEP_1)
	v_sub_nc_u32_e32 v10, v6, v8
	s_wait_alu 0xfffd
	v_subrev_co_ci_u32_e64 v10, s2, s21, v10, vcc_lo
	v_add_co_u32 v11, s2, v4, 2
	s_wait_alu 0xf1ff
	v_add_co_ci_u32_e64 v12, s2, 0, v9, s2
	v_sub_co_u32 v13, s2, v7, s20
	v_sub_co_ci_u32_e32 v8, vcc_lo, v6, v8, vcc_lo
	s_wait_alu 0xf1ff
	v_subrev_co_ci_u32_e64 v10, s2, 0, v10, s2
	s_delay_alu instid0(VALU_DEP_3) | instskip(NEXT) | instid1(VALU_DEP_3)
	v_cmp_le_u32_e32 vcc_lo, s20, v13
	v_cmp_eq_u32_e64 s2, s21, v8
	s_wait_alu 0xfffd
	v_cndmask_b32_e64 v13, 0, -1, vcc_lo
	v_cmp_le_u32_e32 vcc_lo, s21, v10
	s_wait_alu 0xfffd
	v_cndmask_b32_e64 v14, 0, -1, vcc_lo
	v_cmp_le_u32_e32 vcc_lo, s20, v7
	;; [unrolled: 3-line block ×3, first 2 shown]
	s_wait_alu 0xfffd
	v_cndmask_b32_e64 v15, 0, -1, vcc_lo
	v_cmp_eq_u32_e32 vcc_lo, s21, v10
	s_wait_alu 0xf1ff
	s_delay_alu instid0(VALU_DEP_2)
	v_cndmask_b32_e64 v7, v15, v7, s2
	s_wait_alu 0xfffd
	v_cndmask_b32_e32 v10, v14, v13, vcc_lo
	v_add_co_u32 v13, vcc_lo, v4, 1
	s_wait_alu 0xfffd
	v_add_co_ci_u32_e32 v14, vcc_lo, 0, v9, vcc_lo
	s_delay_alu instid0(VALU_DEP_3) | instskip(SKIP_2) | instid1(VALU_DEP_3)
	v_cmp_ne_u32_e32 vcc_lo, 0, v10
	s_wait_alu 0xfffd
	v_cndmask_b32_e32 v10, v13, v11, vcc_lo
	v_cndmask_b32_e32 v8, v14, v12, vcc_lo
	v_cmp_ne_u32_e32 vcc_lo, 0, v7
	s_wait_alu 0xfffd
	s_delay_alu instid0(VALU_DEP_2)
	v_dual_cndmask_b32 v7, v4, v10 :: v_dual_cndmask_b32 v8, v9, v8
.LBB0_4:                                ;   in Loop: Header=BB0_2 Depth=1
	s_wait_alu 0xfffe
	s_and_not1_saveexec_b32 s2, s22
	s_cbranch_execz .LBB0_6
; %bb.5:                                ;   in Loop: Header=BB0_2 Depth=1
	v_cvt_f32_u32_e32 v4, s20
	s_sub_co_i32 s22, 0, s20
	s_delay_alu instid0(VALU_DEP_1) | instskip(NEXT) | instid1(TRANS32_DEP_1)
	v_rcp_iflag_f32_e32 v4, v4
	v_mul_f32_e32 v4, 0x4f7ffffe, v4
	s_delay_alu instid0(VALU_DEP_1) | instskip(SKIP_1) | instid1(VALU_DEP_1)
	v_cvt_u32_f32_e32 v4, v4
	s_wait_alu 0xfffe
	v_mul_lo_u32 v7, s22, v4
	s_delay_alu instid0(VALU_DEP_1) | instskip(NEXT) | instid1(VALU_DEP_1)
	v_mul_hi_u32 v7, v4, v7
	v_add_nc_u32_e32 v4, v4, v7
	s_delay_alu instid0(VALU_DEP_1) | instskip(NEXT) | instid1(VALU_DEP_1)
	v_mul_hi_u32 v4, v5, v4
	v_mul_lo_u32 v7, v4, s20
	v_add_nc_u32_e32 v8, 1, v4
	s_delay_alu instid0(VALU_DEP_2) | instskip(NEXT) | instid1(VALU_DEP_1)
	v_sub_nc_u32_e32 v7, v5, v7
	v_subrev_nc_u32_e32 v9, s20, v7
	v_cmp_le_u32_e32 vcc_lo, s20, v7
	s_wait_alu 0xfffd
	s_delay_alu instid0(VALU_DEP_2) | instskip(NEXT) | instid1(VALU_DEP_1)
	v_dual_cndmask_b32 v7, v7, v9 :: v_dual_cndmask_b32 v4, v4, v8
	v_cmp_le_u32_e32 vcc_lo, s20, v7
	s_delay_alu instid0(VALU_DEP_2) | instskip(SKIP_1) | instid1(VALU_DEP_1)
	v_add_nc_u32_e32 v8, 1, v4
	s_wait_alu 0xfffd
	v_dual_cndmask_b32 v7, v4, v8 :: v_dual_mov_b32 v8, v3
.LBB0_6:                                ;   in Loop: Header=BB0_2 Depth=1
	s_wait_alu 0xfffe
	s_or_b32 exec_lo, exec_lo, s2
	s_load_b64 s[22:23], s[14:15], 0x0
	s_delay_alu instid0(VALU_DEP_1)
	v_mul_lo_u32 v4, v8, s20
	v_mul_lo_u32 v11, v7, s21
	v_mad_co_u64_u32 v[9:10], null, v7, s20, 0
	s_add_nc_u64 s[16:17], s[16:17], 1
	s_add_nc_u64 s[14:15], s[14:15], 8
	s_wait_alu 0xfffe
	v_cmp_ge_u64_e64 s2, s[16:17], s[6:7]
	s_add_nc_u64 s[18:19], s[18:19], 8
	s_delay_alu instid0(VALU_DEP_2) | instskip(NEXT) | instid1(VALU_DEP_3)
	v_add3_u32 v4, v10, v11, v4
	v_sub_co_u32 v5, vcc_lo, v5, v9
	s_wait_alu 0xfffd
	s_delay_alu instid0(VALU_DEP_2) | instskip(SKIP_3) | instid1(VALU_DEP_2)
	v_sub_co_ci_u32_e32 v4, vcc_lo, v6, v4, vcc_lo
	s_and_b32 vcc_lo, exec_lo, s2
	s_wait_kmcnt 0x0
	v_mul_lo_u32 v6, s23, v5
	v_mul_lo_u32 v4, s22, v4
	v_mad_co_u64_u32 v[1:2], null, s22, v5, v[1:2]
	s_delay_alu instid0(VALU_DEP_1)
	v_add3_u32 v2, v6, v2, v4
	s_wait_alu 0xfffe
	s_cbranch_vccnz .LBB0_9
; %bb.7:                                ;   in Loop: Header=BB0_2 Depth=1
	v_dual_mov_b32 v5, v7 :: v_dual_mov_b32 v6, v8
	s_branch .LBB0_2
.LBB0_8:
	v_dual_mov_b32 v8, v6 :: v_dual_mov_b32 v7, v5
.LBB0_9:
	s_lshl_b64 s[2:3], s[6:7], 3
	v_mul_hi_u32 v3, 0x199999a, v0
	s_wait_alu 0xfffe
	s_add_nc_u64 s[2:3], s[12:13], s[2:3]
	s_load_b64 s[0:1], s[0:1], 0x20
	s_load_b64 s[2:3], s[2:3], 0x0
                                        ; implicit-def: $vgpr100
                                        ; implicit-def: $vgpr115
                                        ; implicit-def: $vgpr102
                                        ; implicit-def: $vgpr104
                                        ; implicit-def: $vgpr108
                                        ; implicit-def: $vgpr106
                                        ; implicit-def: $vgpr111
                                        ; implicit-def: $vgpr110
                                        ; implicit-def: $vgpr113
	s_delay_alu instid0(VALU_DEP_1) | instskip(NEXT) | instid1(VALU_DEP_1)
	v_mul_u32_u24_e32 v3, 0xa0, v3
	v_sub_nc_u32_e32 v96, v0, v3
	s_delay_alu instid0(VALU_DEP_1)
	v_add_nc_u32_e32 v160, 0xa0, v96
	v_add_nc_u32_e32 v159, 0x140, v96
	;; [unrolled: 1-line block ×4, first 2 shown]
	s_wait_kmcnt 0x0
	v_cmp_gt_u64_e32 vcc_lo, s[0:1], v[7:8]
	v_mul_lo_u32 v3, s2, v8
	v_mul_lo_u32 v4, s3, v7
	v_mad_co_u64_u32 v[0:1], null, s2, v7, v[1:2]
	v_cmp_le_u64_e64 s0, s[0:1], v[7:8]
	v_or_b32_e32 v156, 0x500, v96
	v_add_nc_u32_e32 v161, 0x320, v96
	v_add_nc_u32_e32 v164, 0x1e0, v96
	;; [unrolled: 1-line block ×4, first 2 shown]
	v_add3_u32 v1, v4, v1, v3
	s_and_saveexec_b32 s1, s0
	s_wait_alu 0xfffe
	s_xor_b32 s0, exec_lo, s1
; %bb.10:
	v_add_nc_u32_e32 v100, 0xa0, v96
	v_add_nc_u32_e32 v115, 0x140, v96
	v_add_nc_u32_e32 v102, 0x280, v96
	v_add_nc_u32_e32 v104, 0x3c0, v96
	v_or_b32_e32 v108, 0x500, v96
	v_add_nc_u32_e32 v106, 0x320, v96
	v_add_nc_u32_e32 v111, 0x1e0, v96
	v_add_nc_u32_e32 v110, 0x460, v96
	v_add_nc_u32_e32 v113, 0x5a0, v96
; %bb.11:
	s_wait_alu 0xfffe
	s_or_saveexec_b32 s1, s0
	v_lshlrev_b64_e32 v[98:99], 4, v[0:1]
	v_add_nc_u32_e32 v170, 0x640, v96
	v_add_nc_u32_e32 v168, 0x780, v96
	;; [unrolled: 1-line block ×7, first 2 shown]
                                        ; implicit-def: $vgpr10_vgpr11
                                        ; implicit-def: $vgpr78_vgpr79
                                        ; implicit-def: $vgpr18_vgpr19
                                        ; implicit-def: $vgpr34_vgpr35
                                        ; implicit-def: $vgpr2_vgpr3
                                        ; implicit-def: $vgpr74_vgpr75
                                        ; implicit-def: $vgpr66_vgpr67
                                        ; implicit-def: $vgpr58_vgpr59
                                        ; implicit-def: $vgpr42_vgpr43
                                        ; implicit-def: $vgpr30_vgpr31
                                        ; implicit-def: $vgpr22_vgpr23
                                        ; implicit-def: $vgpr46_vgpr47
                                        ; implicit-def: $vgpr62_vgpr63
                                        ; implicit-def: $vgpr54_vgpr55
                                        ; implicit-def: $vgpr70_vgpr71
                                        ; implicit-def: $vgpr6_vgpr7
                                        ; implicit-def: $vgpr38_vgpr39
                                        ; implicit-def: $vgpr26_vgpr27
                                        ; implicit-def: $vgpr50_vgpr51
                                        ; implicit-def: $vgpr14_vgpr15
	s_wait_alu 0xfffe
	s_xor_b32 exec_lo, exec_lo, s1
	s_cbranch_execz .LBB0_13
; %bb.12:
	v_mad_co_u64_u32 v[0:1], null, s8, v96, 0
	v_mad_co_u64_u32 v[2:3], null, s8, v159, 0
	;; [unrolled: 1-line block ×4, first 2 shown]
	v_add_co_u32 v60, s0, s10, v98
	s_delay_alu instid0(VALU_DEP_4)
	v_mad_co_u64_u32 v[4:5], null, s9, v96, v[1:2]
	v_mad_co_u64_u32 v[5:6], null, s8, v157, 0
	v_mov_b32_e32 v1, v3
	s_wait_alu 0xf1ff
	v_add_co_ci_u32_e64 v61, s0, s11, v99, s0
	v_mad_co_u64_u32 v[20:21], null, s8, v170, 0
	s_delay_alu instid0(VALU_DEP_3) | instskip(SKIP_3) | instid1(VALU_DEP_4)
	v_mad_co_u64_u32 v[7:8], null, s9, v159, v[1:2]
	v_dual_mov_b32 v1, v4 :: v_dual_mov_b32 v4, v6
	v_mad_co_u64_u32 v[40:41], null, s8, v160, 0
	v_mad_co_u64_u32 v[30:31], null, s8, v165, 0
	v_mov_b32_e32 v3, v7
	s_delay_alu instid0(VALU_DEP_4) | instskip(SKIP_2) | instid1(VALU_DEP_4)
	v_mad_co_u64_u32 v[6:7], null, s9, v157, v[4:5]
	v_mov_b32_e32 v4, v17
	v_lshlrev_b64_e32 v[0:1], 4, v[0:1]
	v_lshlrev_b64_e32 v[2:3], 4, v[2:3]
	v_dual_mov_b32 v106, v161 :: v_dual_add_nc_u32 v55, 0x960, v96
	s_delay_alu instid0(VALU_DEP_4) | instskip(NEXT) | instid1(VALU_DEP_4)
	v_mad_co_u64_u32 v[7:8], null, s9, v158, v[4:5]
	v_add_co_u32 v0, s0, v60, v0
	s_wait_alu 0xf1ff
	v_add_co_ci_u32_e64 v1, s0, v61, v1, s0
	v_add_co_u32 v2, s0, v60, v2
	s_wait_alu 0xf1ff
	v_add_co_ci_u32_e64 v3, s0, v61, v3, s0
	s_clause 0x1
	global_load_b128 v[12:15], v[0:1], off
	global_load_b128 v[8:11], v[2:3], off
	v_lshlrev_b64_e32 v[1:2], 4, v[5:6]
	v_dual_mov_b32 v0, v19 :: v_dual_mov_b32 v3, v21
	v_mov_b32_e32 v17, v7
	v_mad_co_u64_u32 v[56:57], null, s8, v167, 0
	s_delay_alu instid0(VALU_DEP_3) | instskip(NEXT) | instid1(VALU_DEP_3)
	v_mad_co_u64_u32 v[4:5], null, s9, v156, v[0:1]
	v_lshlrev_b64_e32 v[16:17], 4, v[16:17]
	v_add_co_u32 v0, s0, v60, v1
	s_wait_alu 0xf1ff
	v_add_co_ci_u32_e64 v1, s0, v61, v2, s0
	v_mov_b32_e32 v113, v163
	v_mad_co_u64_u32 v[5:6], null, s9, v170, v[3:4]
	v_add_co_u32 v3, s0, v60, v16
	v_mad_co_u64_u32 v[6:7], null, s8, v168, 0
	v_mov_b32_e32 v111, v164
	v_mov_b32_e32 v115, v159
	;; [unrolled: 1-line block ×3, first 2 shown]
	v_or_b32_e32 v5, 0xa00, v96
	v_mov_b32_e32 v110, v162
	v_mov_b32_e32 v104, v158
	;; [unrolled: 1-line block ×4, first 2 shown]
	v_mad_co_u64_u32 v[28:29], null, s8, v5, 0
	v_mov_b32_e32 v19, v4
	s_wait_alu 0xf1ff
	v_add_co_ci_u32_e64 v4, s0, v61, v17, s0
	v_mov_b32_e32 v102, v157
	v_mov_b32_e32 v100, v160
	v_lshlrev_b64_e32 v[16:17], 4, v[18:19]
	v_lshlrev_b64_e32 v[18:19], 4, v[20:21]
	v_mad_co_u64_u32 v[20:21], null, s9, v168, v[2:3]
	v_mad_co_u64_u32 v[21:22], null, s8, v166, 0
	s_delay_alu instid0(VALU_DEP_4)
	v_add_co_u32 v16, s0, v60, v16
	s_wait_alu 0xf1ff
	v_add_co_ci_u32_e64 v17, s0, v61, v17, s0
	v_add_co_u32 v18, s0, v60, v18
	s_wait_alu 0xf1ff
	v_add_co_ci_u32_e64 v19, s0, v61, v19, s0
	s_clause 0x3
	global_load_b128 v[76:79], v[0:1], off
	global_load_b128 v[48:51], v[3:4], off
	;; [unrolled: 1-line block ×4, first 2 shown]
	v_dual_mov_b32 v0, v29 :: v_dual_mov_b32 v7, v20
	v_mov_b32_e32 v2, v22
	s_delay_alu instid0(VALU_DEP_1) | instskip(NEXT) | instid1(VALU_DEP_3)
	v_mad_co_u64_u32 v[22:23], null, s9, v166, v[2:3]
	v_lshlrev_b64_e32 v[1:2], 4, v[6:7]
	v_mov_b32_e32 v3, v31
	s_delay_alu instid0(VALU_DEP_2) | instskip(SKIP_2) | instid1(VALU_DEP_4)
	v_mad_co_u64_u32 v[4:5], null, s9, v5, v[0:1]
	v_add_co_u32 v0, s0, v60, v1
	s_wait_alu 0xf1ff
	v_add_co_ci_u32_e64 v1, s0, v61, v2, s0
	v_mov_b32_e32 v2, v41
	s_delay_alu instid0(VALU_DEP_4) | instskip(SKIP_2) | instid1(VALU_DEP_3)
	v_mad_co_u64_u32 v[5:6], null, s9, v165, v[3:4]
	v_lshlrev_b64_e32 v[6:7], 4, v[21:22]
	v_mov_b32_e32 v29, v4
	v_mov_b32_e32 v31, v5
	s_delay_alu instid0(VALU_DEP_3) | instskip(NEXT) | instid1(VALU_DEP_3)
	v_add_co_u32 v3, s0, v60, v6
	v_lshlrev_b64_e32 v[5:6], 4, v[28:29]
	v_mad_co_u64_u32 v[28:29], null, s8, v164, 0
	s_delay_alu instid0(VALU_DEP_3) | instskip(SKIP_4) | instid1(VALU_DEP_4)
	v_mad_co_u64_u32 v[22:23], null, s9, v160, v[2:3]
	v_lshlrev_b64_e32 v[20:21], 4, v[30:31]
	s_wait_alu 0xf1ff
	v_add_co_ci_u32_e64 v4, s0, v61, v7, s0
	v_add_co_u32 v5, s0, v60, v5
	v_dual_mov_b32 v2, v29 :: v_dual_mov_b32 v41, v22
	v_mad_co_u64_u32 v[22:23], null, s8, v161, 0
	s_wait_alu 0xf1ff
	v_add_co_ci_u32_e64 v6, s0, v61, v6, s0
	s_delay_alu instid0(VALU_DEP_3)
	v_mad_co_u64_u32 v[29:30], null, s9, v164, v[2:3]
	v_mad_co_u64_u32 v[30:31], null, s8, v162, 0
	v_add_co_u32 v20, s0, v60, v20
	s_wait_alu 0xf1ff
	v_add_co_ci_u32_e64 v21, s0, v61, v21, s0
	s_clause 0x3
	global_load_b128 v[32:35], v[0:1], off
	global_load_b128 v[36:39], v[3:4], off
	;; [unrolled: 1-line block ×4, first 2 shown]
	v_lshlrev_b64_e32 v[20:21], 4, v[40:41]
	v_lshlrev_b64_e32 v[28:29], 4, v[28:29]
	s_delay_alu instid0(VALU_DEP_2) | instskip(SKIP_1) | instid1(VALU_DEP_3)
	v_add_co_u32 v20, s0, v60, v20
	s_wait_alu 0xf1ff
	v_add_co_ci_u32_e64 v21, s0, v61, v21, s0
	s_delay_alu instid0(VALU_DEP_3)
	v_add_co_u32 v28, s0, v60, v28
	s_wait_alu 0xf1ff
	v_add_co_ci_u32_e64 v29, s0, v61, v29, s0
	s_clause 0x1
	global_load_b128 v[72:75], v[20:21], off
	global_load_b128 v[68:71], v[28:29], off
	s_wait_loadcnt 0x7
	v_mad_co_u64_u32 v[40:41], null, s9, v161, v[23:24]
	v_mov_b32_e32 v23, v31
	v_mad_co_u64_u32 v[41:42], null, s8, v163, 0
	s_delay_alu instid0(VALU_DEP_2) | instskip(NEXT) | instid1(VALU_DEP_2)
	v_mad_co_u64_u32 v[43:44], null, s9, v162, v[23:24]
	v_dual_mov_b32 v23, v40 :: v_dual_mov_b32 v40, v42
	s_delay_alu instid0(VALU_DEP_2) | instskip(SKIP_1) | instid1(VALU_DEP_3)
	v_mov_b32_e32 v31, v43
	v_mad_co_u64_u32 v[43:44], null, s8, v171, 0
	v_mad_co_u64_u32 v[45:46], null, s9, v163, v[40:41]
	;; [unrolled: 1-line block ×3, first 2 shown]
	s_delay_alu instid0(VALU_DEP_4) | instskip(NEXT) | instid1(VALU_DEP_4)
	v_lshlrev_b64_e32 v[30:31], 4, v[30:31]
	v_mov_b32_e32 v40, v44
	s_delay_alu instid0(VALU_DEP_4) | instskip(NEXT) | instid1(VALU_DEP_2)
	v_mov_b32_e32 v42, v45
	v_mad_co_u64_u32 v[44:45], null, s9, v171, v[40:41]
	s_delay_alu instid0(VALU_DEP_2) | instskip(SKIP_1) | instid1(VALU_DEP_1)
	v_lshlrev_b64_e32 v[41:42], 4, v[41:42]
	v_dual_mov_b32 v40, v47 :: v_dual_mov_b32 v45, v57
	v_mad_co_u64_u32 v[52:53], null, s9, v169, v[40:41]
	v_mad_co_u64_u32 v[53:54], null, s8, v55, 0
	s_delay_alu instid0(VALU_DEP_2) | instskip(SKIP_1) | instid1(VALU_DEP_2)
	v_dual_mov_b32 v47, v52 :: v_dual_add_nc_u32 v52, 0xbe0, v96
	v_lshlrev_b64_e32 v[22:23], 4, v[22:23]
	v_mad_co_u64_u32 v[58:59], null, s8, v52, 0
	s_delay_alu instid0(VALU_DEP_2) | instskip(SKIP_1) | instid1(VALU_DEP_3)
	v_add_co_u32 v22, s0, v60, v22
	s_wait_alu 0xf1ff
	v_add_co_ci_u32_e64 v23, s0, v61, v23, s0
	v_add_co_u32 v30, s0, v60, v30
	s_wait_alu 0xf1ff
	v_add_co_ci_u32_e64 v31, s0, v61, v31, s0
	;; [unrolled: 3-line block ×3, first 2 shown]
	v_lshlrev_b64_e32 v[42:43], 4, v[43:44]
	v_mov_b32_e32 v44, v54
	s_delay_alu instid0(VALU_DEP_1)
	v_mad_co_u64_u32 v[54:55], null, s9, v55, v[44:45]
	v_mad_co_u64_u32 v[44:45], null, s9, v167, v[45:46]
	v_lshlrev_b64_e32 v[45:46], 4, v[46:47]
	v_mov_b32_e32 v47, v59
	v_add_co_u32 v42, s0, v60, v42
	s_wait_alu 0xf1ff
	v_add_co_ci_u32_e64 v43, s0, v61, v43, s0
	s_delay_alu instid0(VALU_DEP_3)
	v_mad_co_u64_u32 v[20:21], null, s9, v52, v[47:48]
	v_mov_b32_e32 v57, v44
	v_add_co_u32 v28, s0, v60, v45
	v_lshlrev_b64_e32 v[44:45], 4, v[53:54]
	s_wait_alu 0xf1ff
	v_add_co_ci_u32_e64 v29, s0, v61, v46, s0
	v_mov_b32_e32 v59, v20
	s_clause 0x1
	global_load_b128 v[52:55], v[22:23], off
	global_load_b128 v[64:67], v[30:31], off
	v_lshlrev_b64_e32 v[21:22], 4, v[56:57]
	v_add_co_u32 v30, s0, v60, v44
	s_wait_alu 0xf1ff
	v_add_co_ci_u32_e64 v31, s0, v61, v45, s0
	v_lshlrev_b64_e32 v[44:45], 4, v[58:59]
	s_delay_alu instid0(VALU_DEP_4) | instskip(SKIP_2) | instid1(VALU_DEP_3)
	v_add_co_u32 v20, s0, v60, v21
	s_wait_alu 0xf1ff
	v_add_co_ci_u32_e64 v21, s0, v61, v22, s0
	v_add_co_u32 v22, s0, v60, v44
	s_wait_alu 0xf1ff
	v_add_co_ci_u32_e64 v23, s0, v61, v45, s0
	s_clause 0x5
	global_load_b128 v[56:59], v[40:41], off
	global_load_b128 v[60:63], v[42:43], off
	;; [unrolled: 1-line block ×6, first 2 shown]
.LBB0_13:
	s_or_b32 exec_lo, exec_lo, s1
	s_wait_loadcnt 0xc
	v_add_f64_e32 v[82:83], v[18:19], v[38:39]
	s_wait_loadcnt 0xa
	v_add_f64_e32 v[86:87], v[2:3], v[50:51]
	v_add_f64_e32 v[84:85], v[32:33], v[24:25]
	;; [unrolled: 1-line block ×4, first 2 shown]
	s_wait_loadcnt 0x2
	v_add_f64_e32 v[142:143], v[42:43], v[62:63]
	s_wait_loadcnt 0x0
	v_add_f64_e32 v[132:133], v[66:67], v[22:23]
	v_add_f64_e32 v[118:119], v[16:17], v[36:37]
	;; [unrolled: 1-line block ×5, first 2 shown]
	v_add_f64_e64 v[152:153], v[48:49], -v[16:17]
	v_add_f64_e64 v[154:155], v[16:17], -v[48:49]
	v_add_f64_e64 v[48:49], v[48:49], -v[0:1]
	v_add_f64_e32 v[92:93], v[76:77], v[12:13]
	v_add_f64_e32 v[116:117], v[78:79], v[14:15]
	v_add_f64_e64 v[126:127], v[76:77], -v[24:25]
	v_add_f64_e64 v[134:135], v[4:5], -v[32:33]
	v_add_f64_e64 v[172:173], v[16:17], -v[36:37]
	v_add_f64_e32 v[94:95], v[78:79], v[6:7]
	v_add_f64_e64 v[128:129], v[24:25], -v[76:77]
	v_add_f64_e64 v[138:139], v[32:33], -v[4:5]
	v_add_f64_e64 v[184:185], v[52:53], -v[56:57]
	;; [unrolled: 4-line block ×3, first 2 shown]
	v_add_f64_e64 v[78:79], v[26:27], -v[78:79]
	v_add_f64_e64 v[144:145], v[6:7], -v[34:35]
	;; [unrolled: 1-line block ×6, first 2 shown]
	v_add_f64_e32 v[192:193], v[64:65], v[20:21]
	v_add_f64_e64 v[200:201], v[60:61], -v[40:41]
	s_mov_b32 s14, 0x134454ff
	s_mov_b32 s15, 0xbfee6f0e
	;; [unrolled: 1-line block ×3, first 2 shown]
	v_fma_f64 v[82:83], v[82:83], -0.5, v[10:11]
	v_fma_f64 v[10:11], v[86:87], -0.5, v[10:11]
	v_add_f64_e64 v[86:87], v[28:29], -v[44:45]
	v_fma_f64 v[84:85], v[84:85], -0.5, v[12:13]
	v_fma_f64 v[12:13], v[88:89], -0.5, v[12:13]
	;; [unrolled: 1-line block ×5, first 2 shown]
	s_mov_b32 s2, s14
	v_add_f64_e64 v[148:149], v[18:19], -v[38:39]
	v_add_f64_e64 v[150:151], v[50:51], -v[2:3]
	;; [unrolled: 1-line block ×3, first 2 shown]
	v_fma_f64 v[120:121], v[120:121], -0.5, v[8:9]
	v_add_f64_e32 v[18:19], v[18:19], v[124:125]
	v_fma_f64 v[8:9], v[118:119], -0.5, v[8:9]
	v_add_f64_e64 v[136:137], v[26:27], -v[34:35]
	v_add_f64_e64 v[140:141], v[24:25], -v[32:33]
	v_add_f64_e64 v[182:183], v[38:39], -v[2:3]
	v_add_f64_e32 v[24:25], v[24:25], v[92:93]
	v_add_f64_e32 v[26:27], v[26:27], v[116:117]
	;; [unrolled: 1-line block ×4, first 2 shown]
	v_add_f64_e64 v[178:179], v[36:37], -v[0:1]
	v_add_f64_e32 v[194:195], v[56:57], v[44:45]
	v_add_f64_e32 v[196:197], v[28:29], v[52:53]
	v_fma_f64 v[14:15], v[94:95], -0.5, v[14:15]
	v_add_f64_e32 v[94:95], v[58:59], v[46:47]
	v_add_f64_e32 v[142:143], v[30:31], v[54:55]
	v_add_f64_e64 v[124:125], v[66:67], -v[22:23]
	v_add_f64_e64 v[202:203], v[66:67], -v[62:63]
	v_add_f64_e32 v[128:129], v[138:139], v[128:129]
	v_add_f64_e64 v[138:139], v[22:23], -v[42:43]
	v_fma_f64 v[190:191], v[190:191], -0.5, v[68:69]
	v_add_f64_e32 v[130:131], v[144:145], v[130:131]
	v_add_f64_e64 v[144:145], v[62:63], -v[42:43]
	v_fma_f64 v[192:193], v[192:193], -0.5, v[68:69]
	v_add_f64_e32 v[78:79], v[146:147], v[78:79]
	v_add_f64_e64 v[146:147], v[62:63], -v[66:67]
	s_wait_alu 0xfffe
	v_fma_f64 v[118:119], v[48:49], s[2:3], v[82:83]
	v_fma_f64 v[134:135], v[172:173], s[14:15], v[10:11]
	;; [unrolled: 1-line block ×4, first 2 shown]
	v_add_f64_e32 v[86:87], v[86:87], v[184:185]
	v_add_f64_e32 v[152:153], v[176:177], v[152:153]
	v_fma_f64 v[184:185], v[198:199], s[2:3], v[90:91]
	v_add_f64_e64 v[176:177], v[42:43], -v[22:23]
	v_add_f64_e32 v[174:175], v[180:181], v[174:175]
	v_fma_f64 v[180:181], v[200:201], s[14:15], v[132:133]
	v_fma_f64 v[132:133], v[200:201], s[2:3], v[132:133]
	;; [unrolled: 1-line block ×3, first 2 shown]
	s_mov_b32 s12, 0x4755a5e
	s_mov_b32 s13, 0xbfe2cf23
	;; [unrolled: 1-line block ×4, first 2 shown]
	v_add_f64_e32 v[18:19], v[38:39], v[18:19]
	v_fma_f64 v[38:39], v[150:151], s[14:15], v[8:9]
	v_add_f64_e64 v[76:77], v[76:77], -v[4:5]
	v_add_f64_e32 v[50:51], v[182:183], v[50:51]
	v_add_f64_e32 v[24:25], v[32:33], v[24:25]
	;; [unrolled: 1-line block ×3, first 2 shown]
	v_fma_f64 v[32:33], v[80:81], s[14:15], v[84:85]
	v_fma_f64 v[34:35], v[80:81], s[2:3], v[84:85]
	;; [unrolled: 1-line block ×3, first 2 shown]
	v_add_f64_e32 v[16:17], v[36:37], v[16:17]
	v_fma_f64 v[36:37], v[136:137], s[2:3], v[12:13]
	v_fma_f64 v[8:9], v[150:151], s[2:3], v[8:9]
	v_fma_f64 v[12:13], v[136:137], s[14:15], v[12:13]
	v_fma_f64 v[120:121], v[148:149], s[14:15], v[120:121]
	v_add_f64_e64 v[186:187], v[56:57], -v[52:53]
	v_add_f64_e64 v[188:189], v[44:45], -v[28:29]
	;; [unrolled: 1-line block ×5, first 2 shown]
	v_add_f64_e32 v[154:155], v[178:179], v[154:155]
	v_add_f64_e64 v[178:179], v[54:55], -v[30:31]
	v_fma_f64 v[194:195], v[194:195], -0.5, v[72:73]
	s_wait_alu 0xfffe
	v_fma_f64 v[118:119], v[172:173], s[6:7], v[118:119]
	v_fma_f64 v[134:135], v[48:49], s[6:7], v[134:135]
	;; [unrolled: 1-line block ×4, first 2 shown]
	v_fma_f64 v[196:197], v[196:197], -0.5, v[72:73]
	v_add_f64_e64 v[172:173], v[40:41], -v[20:21]
	v_add_f64_e32 v[48:49], v[72:73], v[52:53]
	v_fma_f64 v[72:73], v[94:95], -0.5, v[74:75]
	v_fma_f64 v[94:95], v[142:143], -0.5, v[74:75]
	v_add_f64_e32 v[138:139], v[138:139], v[202:203]
	v_fma_f64 v[142:143], v[124:125], s[14:15], v[190:191]
	v_fma_f64 v[190:191], v[124:125], s[2:3], v[190:191]
	v_add_f64_e32 v[64:65], v[64:65], v[68:69]
	v_fma_f64 v[68:69], v[200:201], s[6:7], v[184:185]
	v_add_f64_e64 v[182:183], v[58:59], -v[46:47]
	v_fma_f64 v[202:203], v[144:145], s[2:3], v[192:193]
	v_add_f64_e32 v[146:147], v[176:177], v[146:147]
	v_fma_f64 v[180:181], v[198:199], s[6:7], v[180:181]
	v_fma_f64 v[132:133], v[198:199], s[12:13], v[132:133]
	;; [unrolled: 1-line block ×4, first 2 shown]
	s_mov_b32 s16, 0x372fe950
	s_mov_b32 s17, 0x3fd3c6ef
	v_add_f64_e32 v[74:75], v[74:75], v[54:55]
	v_fma_f64 v[38:39], v[148:149], s[12:13], v[38:39]
	v_add_f64_e32 v[66:67], v[66:67], v[70:71]
	v_fma_f64 v[176:177], v[76:77], s[2:3], v[88:89]
	v_fma_f64 v[88:89], v[76:77], s[14:15], v[88:89]
	;; [unrolled: 1-line block ×4, first 2 shown]
	v_add_f64_e64 v[52:53], v[52:53], -v[28:29]
	v_fma_f64 v[8:9], v[148:149], s[6:7], v[8:9]
	v_fma_f64 v[12:13], v[80:81], s[6:7], v[12:13]
	;; [unrolled: 1-line block ×7, first 2 shown]
	s_wait_alu 0xfffe
	v_fma_f64 v[70:71], v[174:175], s[16:17], v[118:119]
	v_fma_f64 v[120:121], v[50:51], s[16:17], v[134:135]
	v_fma_f64 v[10:11], v[50:51], s[16:17], v[10:11]
	v_fma_f64 v[50:51], v[174:175], s[16:17], v[82:83]
	v_add_f64_e32 v[186:187], v[188:189], v[186:187]
	v_fma_f64 v[188:189], v[178:179], s[14:15], v[194:195]
	v_add_f64_e32 v[92:93], v[116:117], v[92:93]
	v_add_f64_e64 v[116:117], v[56:57], -v[44:45]
	v_add_f64_e32 v[118:119], v[172:173], v[122:123]
	v_add_f64_e32 v[48:49], v[56:57], v[48:49]
	v_fma_f64 v[122:123], v[144:145], s[12:13], v[142:143]
	v_fma_f64 v[56:57], v[144:145], s[6:7], v[190:191]
	v_add_f64_e32 v[60:61], v[60:61], v[64:65]
	v_fma_f64 v[64:65], v[138:139], s[16:17], v[68:69]
	v_fma_f64 v[136:137], v[178:179], s[2:3], v[194:195]
	;; [unrolled: 1-line block ×9, first 2 shown]
	v_add_f64_e64 v[138:139], v[54:55], -v[58:59]
	v_add_f64_e32 v[74:75], v[58:59], v[74:75]
	v_fma_f64 v[38:39], v[152:153], s[16:17], v[38:39]
	v_add_f64_e64 v[54:55], v[58:59], -v[54:55]
	v_add_f64_e32 v[58:59], v[62:63], v[66:67]
	v_fma_f64 v[82:83], v[140:141], s[6:7], v[176:177]
	v_fma_f64 v[88:89], v[140:141], s[12:13], v[88:89]
	v_add_f64_e64 v[140:141], v[30:31], -v[46:47]
	v_fma_f64 v[84:85], v[154:155], s[16:17], v[84:85]
	v_fma_f64 v[66:67], v[52:53], s[2:3], v[72:73]
	;; [unrolled: 1-line block ×7, first 2 shown]
	v_add_f64_e64 v[126:127], v[46:47], -v[30:31]
	v_mul_f64_e32 v[62:63], s[12:13], v[70:71]
	v_mul_f64_e32 v[150:151], s[14:15], v[120:121]
	;; [unrolled: 1-line block ×4, first 2 shown]
	v_fma_f64 v[134:135], v[76:77], s[6:7], v[184:185]
	v_fma_f64 v[14:15], v[76:77], s[12:13], v[14:15]
	;; [unrolled: 1-line block ×5, first 2 shown]
	v_add_f64_e32 v[12:13], v[44:45], v[48:49]
	v_fma_f64 v[122:123], v[92:93], s[16:17], v[122:123]
	v_fma_f64 v[44:45], v[92:93], s[16:17], v[56:57]
	v_add_f64_e32 v[40:41], v[40:41], v[60:61]
	v_mul_f64_e32 v[56:57], s[12:13], v[64:65]
	v_fma_f64 v[136:137], v[182:183], s[6:7], v[136:137]
	v_fma_f64 v[144:145], v[178:179], s[12:13], v[194:195]
	v_fma_f64 v[146:147], v[178:179], s[6:7], v[196:197]
	v_fma_f64 v[142:143], v[118:119], s[16:17], v[142:143]
	v_mul_f64_e32 v[60:61], s[14:15], v[68:69]
	v_fma_f64 v[48:49], v[118:119], s[16:17], v[124:125]
	v_mul_f64_e32 v[92:93], s[14:15], v[132:133]
	v_mul_f64_e32 v[118:119], s[12:13], v[90:91]
	v_fma_f64 v[148:149], v[116:117], s[14:15], v[94:95]
	v_fma_f64 v[94:95], v[116:117], s[2:3], v[94:95]
	s_mov_b32 s18, 0x9b97f4a8
	s_mov_b32 s19, 0x3fe9e377
	;; [unrolled: 1-line block ×4, first 2 shown]
	v_add_f64_e32 v[24:25], v[4:5], v[24:25]
	v_add_f64_e32 v[16:17], v[0:1], v[16:17]
	v_mul_f64_e32 v[0:1], s[18:19], v[70:71]
	s_mov_b32 s23, 0xbfe9e377
	s_mov_b32 s22, s18
	v_add_f64_e32 v[42:43], v[42:43], v[58:59]
	v_add_f64_e32 v[4:5], v[140:141], v[138:139]
	v_mul_f64_e32 v[70:71], s[2:3], v[84:85]
	v_fma_f64 v[72:73], v[116:117], s[12:13], v[72:73]
	s_wait_alu 0xfffe
	v_mul_f64_e32 v[10:11], s[20:21], v[10:11]
	v_fma_f64 v[58:59], v[38:39], s[18:19], v[62:63]
	v_fma_f64 v[62:63], v[116:117], s[6:7], v[66:67]
	;; [unrolled: 1-line block ×4, first 2 shown]
	v_mul_f64_e32 v[50:51], s[22:23], v[50:51]
	v_add_f64_e32 v[54:55], v[126:127], v[54:55]
	v_fma_f64 v[126:127], v[8:9], s[22:23], v[154:155]
	v_fma_f64 v[76:77], v[86:87], s[16:17], v[76:77]
	v_mul_f64_e32 v[124:125], s[20:21], v[132:133]
	v_add_f64_e32 v[138:139], v[28:29], v[12:13]
	v_add_f64_e32 v[46:47], v[46:47], v[74:75]
	v_mul_f64_e32 v[74:75], s[6:7], v[122:123]
	v_add_f64_e32 v[40:41], v[20:21], v[40:41]
	v_fma_f64 v[56:57], v[122:123], s[18:19], v[56:57]
	v_fma_f64 v[86:87], v[86:87], s[16:17], v[136:137]
	;; [unrolled: 1-line block ×4, first 2 shown]
	v_mul_f64_e32 v[90:91], s[22:23], v[90:91]
	v_fma_f64 v[60:61], v[142:143], s[16:17], v[60:61]
	v_add_f64_e32 v[140:141], v[2:3], v[18:19]
	v_fma_f64 v[92:93], v[48:49], s[20:21], v[92:93]
	v_fma_f64 v[118:119], v[44:45], s[22:23], v[118:119]
	;; [unrolled: 1-line block ×4, first 2 shown]
	v_mul_f64_e32 v[94:95], s[2:3], v[142:143]
	v_fma_f64 v[82:83], v[130:131], s[16:17], v[82:83]
	v_fma_f64 v[88:89], v[130:131], s[16:17], v[88:89]
	;; [unrolled: 1-line block ×3, first 2 shown]
	v_add_f64_e32 v[122:123], v[6:7], v[26:27]
	v_fma_f64 v[78:79], v[78:79], s[16:17], v[14:15]
	v_fma_f64 v[134:135], v[38:39], s[6:7], v[0:1]
	v_add_f64_e32 v[0:1], v[16:17], v[24:25]
	v_lshl_add_u32 v177, v108, 3, 0
	v_add_f64_e32 v[144:145], v[22:23], v[42:43]
	v_lshl_add_u32 v174, v115, 3, 0
	v_fma_f64 v[70:71], v[120:121], s[16:17], v[70:71]
	v_fma_f64 v[72:73], v[4:5], s[16:17], v[72:73]
	;; [unrolled: 1-line block ×3, first 2 shown]
	v_add_f64_e32 v[2:3], v[32:33], v[58:59]
	v_fma_f64 v[146:147], v[4:5], s[16:17], v[62:63]
	v_add_f64_e32 v[4:5], v[36:37], v[84:85]
	v_add_f64_e32 v[6:7], v[128:129], v[116:117]
	v_fma_f64 v[120:121], v[8:9], s[6:7], v[50:51]
	v_add_f64_e64 v[10:11], v[24:25], -v[16:17]
	v_add_f64_e32 v[8:9], v[34:35], v[126:127]
	v_add_f64_e64 v[12:13], v[32:33], -v[58:59]
	v_add_f64_e64 v[14:15], v[36:37], -v[84:85]
	;; [unrolled: 1-line block ×4, first 2 shown]
	v_add_f64_e32 v[142:143], v[30:31], v[46:47]
	v_add_f64_e32 v[20:21], v[138:139], v[40:41]
	;; [unrolled: 1-line block ×3, first 2 shown]
	v_fma_f64 v[74:75], v[64:65], s[18:19], v[74:75]
	v_add_f64_e64 v[30:31], v[138:139], -v[40:41]
	v_fma_f64 v[124:125], v[48:49], s[2:3], v[124:125]
	v_add_f64_e64 v[32:33], v[76:77], -v[56:57]
	v_add_f64_e32 v[24:25], v[132:133], v[60:61]
	v_add_f64_e64 v[34:35], v[132:133], -v[60:61]
	v_add_f64_e32 v[26:27], v[136:137], v[92:93]
	v_add_f64_e32 v[28:29], v[86:87], v[118:119]
	v_fma_f64 v[148:149], v[54:55], s[16:17], v[66:67]
	v_fma_f64 v[150:151], v[54:55], s[16:17], v[52:53]
	;; [unrolled: 1-line block ×4, first 2 shown]
	v_add_f64_e64 v[36:37], v[136:137], -v[92:93]
	v_add_f64_e64 v[38:39], v[86:87], -v[118:119]
	v_mul_u32_u24_e32 v56, 10, v96
	v_mul_i32_i24_e32 v57, 10, v100
	v_add_f64_e32 v[40:41], v[140:141], v[122:123]
	v_add_f64_e32 v[42:43], v[82:83], v[134:135]
	v_add_f64_e64 v[50:51], v[122:123], -v[140:141]
	v_lshl_add_u32 v112, v56, 3, 0
	v_lshl_add_u32 v172, v57, 3, 0
	v_add_f64_e32 v[44:45], v[130:131], v[70:71]
	v_add_f64_e64 v[52:53], v[82:83], -v[134:135]
	v_add_f64_e32 v[46:47], v[78:79], v[80:81]
	ds_store_b128 v112, v[0:3]
	ds_store_b128 v112, v[4:7] offset:16
	ds_store_b128 v112, v[8:11] offset:32
	;; [unrolled: 1-line block ×4, first 2 shown]
	ds_store_b128 v172, v[20:23]
	ds_store_b128 v172, v[24:27] offset:16
	ds_store_b128 v172, v[28:31] offset:32
	;; [unrolled: 1-line block ×4, first 2 shown]
	v_and_b32_e32 v0, 0xffff, v100
	v_and_b32_e32 v1, 0xff, v96
	v_add_f64_e32 v[48:49], v[88:89], v[120:121]
	v_add_f64_e32 v[64:65], v[142:143], v[144:145]
	;; [unrolled: 1-line block ×3, first 2 shown]
	v_mul_u32_u24_e32 v0, 0xcccd, v0
	v_add_f64_e64 v[54:55], v[130:131], -v[70:71]
	v_add_f64_e32 v[68:69], v[148:149], v[94:95]
	v_add_f64_e32 v[70:71], v[150:151], v[124:125]
	v_add_f64_e64 v[60:61], v[78:79], -v[80:81]
	v_add_f64_e64 v[62:63], v[88:89], -v[120:121]
	v_add_f64_e32 v[80:81], v[72:73], v[90:91]
	v_add_f64_e64 v[82:83], v[142:143], -v[144:145]
	v_add_f64_e64 v[84:85], v[146:147], -v[74:75]
	;; [unrolled: 1-line block ×3, first 2 shown]
	v_lshrrev_b32_e32 v105, 19, v0
	v_mul_lo_u16 v0, 0xcd, v1
	v_add_f64_e64 v[88:89], v[150:151], -v[124:125]
	v_add_f64_e64 v[90:91], v[72:73], -v[90:91]
	v_mad_i32_i24 v173, 0xffffffb8, v96, v112
	v_mul_lo_u16 v4, v105, 10
	v_lshrrev_b16 v107, 11, v0
	v_mad_i32_i24 v97, 0xffffffb8, v100, v172
	v_lshl_add_u32 v175, v102, 3, 0
	v_add_nc_u32_e32 v114, 0x3000, v173
	v_add_nc_u32_e32 v152, 0x3c00, v173
	v_mul_lo_u16 v5, v107, 10
	v_add_nc_u32_e32 v126, 0x4400, v173
	v_add_nc_u32_e32 v153, 0x5000, v173
	;; [unrolled: 1-line block ×3, first 2 shown]
	v_sub_nc_u16 v4, v100, v4
	v_sub_nc_u16 v5, v96, v5
	v_add_nc_u32_e32 v109, 0x100, v173
	v_lshl_add_u32 v176, v104, 3, 0
	global_wb scope:SCOPE_SE
	s_wait_dscnt 0x0
	s_barrier_signal -1
	v_and_b32_e32 v103, 0xff, v5
	s_barrier_wait -1
	global_inv scope:SCOPE_SE
	ds_load_b64 v[116:117], v173
	ds_load_b64 v[118:119], v174
	;; [unrolled: 1-line block ×4, first 2 shown]
	ds_load_2addr_b64 v[128:131], v114 offset0:64 offset1:224
	v_mul_u32_u24_e32 v5, 9, v103
	ds_load_2addr_b64 v[28:31], v152 offset1:160
	ds_load_2addr_b64 v[92:95], v126 offset0:64 offset1:224
	ds_load_2addr_b64 v[56:59], v153 offset1:160
	ds_load_2addr_b64 v[72:75], v127 offset0:64 offset1:224
	v_lshlrev_b32_e32 v8, 4, v5
	ds_load_b64 v[136:137], v177
	ds_load_b64 v[120:121], v97
	ds_load_2addr_stride64_b64 v[0:3], v109 offset0:7 offset1:12
	ds_load_2addr_stride64_b64 v[76:79], v109 offset0:17 offset1:22
	global_wb scope:SCOPE_SE
	s_wait_dscnt 0x0
	s_barrier_signal -1
	s_barrier_wait -1
	global_inv scope:SCOPE_SE
	v_and_b32_e32 v101, 0xffff, v4
	ds_store_b128 v112, v[40:43]
	ds_store_b128 v112, v[44:47] offset:16
	ds_store_b128 v112, v[48:51] offset:32
	;; [unrolled: 1-line block ×4, first 2 shown]
	ds_store_b128 v172, v[64:67]
	ds_store_b128 v172, v[68:71] offset:16
	ds_store_b128 v172, v[80:83] offset:32
	;; [unrolled: 1-line block ×4, first 2 shown]
	global_wb scope:SCOPE_SE
	s_wait_dscnt 0x0
	s_barrier_signal -1
	s_barrier_wait -1
	global_inv scope:SCOPE_SE
	global_load_b128 v[64:67], v8, s[4:5] offset:64
	v_mul_u32_u24_e32 v4, 9, v101
	v_cmp_gt_u32_e64 s0, 0x64, v96
	v_lshlrev_b32_e32 v103, 3, v103
	v_mul_u32_u24_e32 v105, 0x320, v105
	v_lshlrev_b32_e32 v101, 3, v101
	v_lshlrev_b32_e32 v4, 4, v4
	s_clause 0x10
	global_load_b128 v[132:135], v4, s[4:5] offset:64
	global_load_b128 v[178:181], v8, s[4:5] offset:96
	;; [unrolled: 1-line block ×15, first 2 shown]
	global_load_b128 v[4:7], v4, s[4:5]
	global_load_b128 v[8:11], v8, s[4:5]
	ds_load_2addr_b64 v[140:143], v114 offset0:64 offset1:224
	ds_load_2addr_b64 v[186:189], v126 offset0:64 offset1:224
	ds_load_b64 v[144:145], v176
	ds_load_2addr_b64 v[80:83], v127 offset0:64 offset1:224
	ds_load_b64 v[138:139], v175
	ds_load_2addr_stride64_b64 v[60:63], v109 offset0:17 offset1:22
	v_add3_u32 v101, 0, v105, v101
	s_wait_loadcnt_dscnt 0x1005
	v_mul_f64_e32 v[150:151], v[142:143], v[134:135]
	v_mul_f64_e32 v[134:135], v[130:131], v[134:135]
	s_wait_loadcnt_dscnt 0xf04
	v_mul_f64_e32 v[190:191], v[186:187], v[180:181]
	v_mul_f64_e32 v[180:181], v[92:93], v[180:181]
	s_wait_loadcnt 0xe
	v_mul_f64_e32 v[192:193], v[188:189], v[184:185]
	v_mul_f64_e32 v[68:69], v[140:141], v[66:67]
	;; [unrolled: 1-line block ×4, first 2 shown]
	s_wait_loadcnt_dscnt 0xd03
	v_mul_f64_e32 v[148:149], v[144:145], v[90:91]
	v_mul_f64_e32 v[146:147], v[124:125], v[90:91]
	s_wait_loadcnt_dscnt 0xb02
	v_mul_f64_e32 v[154:155], v[82:83], v[42:43]
	s_wait_loadcnt_dscnt 0xa00
	v_mul_f64_e32 v[194:195], v[60:61], v[46:47]
	s_wait_loadcnt 0x9
	v_mul_f64_e32 v[196:197], v[62:63], v[14:15]
	v_mul_f64_e32 v[46:47], v[76:77], v[46:47]
	v_fma_f64 v[130:131], v[130:131], v[132:133], v[150:151]
	v_mul_f64_e32 v[150:151], v[80:81], v[86:87]
	v_fma_f64 v[128:129], v[128:129], v[64:65], v[68:69]
	v_fma_f64 v[126:127], v[140:141], v[64:65], -v[66:67]
	ds_load_2addr_b64 v[68:71], v152 offset1:160
	ds_load_2addr_b64 v[64:67], v153 offset1:160
	v_mul_f64_e32 v[152:153], v[72:73], v[86:87]
	v_fma_f64 v[86:87], v[142:143], v[132:133], -v[134:135]
	ds_load_b64 v[140:141], v177
	v_fma_f64 v[142:143], v[92:93], v[178:179], v[190:191]
	ds_load_2addr_stride64_b64 v[90:93], v109 offset0:7 offset1:12
	v_fma_f64 v[132:133], v[186:187], v[178:179], -v[180:181]
	v_fma_f64 v[134:135], v[94:95], v[182:183], v[192:193]
	v_fma_f64 v[94:95], v[188:189], v[182:183], -v[184:185]
	v_fma_f64 v[124:125], v[124:125], v[88:89], v[148:149]
	ds_load_b64 v[148:149], v174
	s_wait_loadcnt 0x4
	v_mul_f64_e32 v[188:189], v[138:139], v[54:55]
	v_fma_f64 v[88:89], v[144:145], v[88:89], -v[146:147]
	v_mul_f64_e32 v[190:191], v[74:75], v[42:43]
	ds_load_b64 v[182:183], v97
	v_mul_f64_e32 v[54:55], v[122:123], v[54:55]
	v_fma_f64 v[76:77], v[76:77], v[44:45], v[194:195]
	v_fma_f64 v[44:45], v[60:61], v[44:45], -v[46:47]
	s_wait_dscnt 0x5
	v_mul_f64_e32 v[178:179], v[68:69], v[38:39]
	v_mul_f64_e32 v[180:181], v[70:71], v[22:23]
	s_wait_dscnt 0x4
	v_mul_f64_e32 v[184:185], v[64:65], v[34:35]
	v_mul_f64_e32 v[186:187], v[66:67], v[18:19]
	s_wait_loadcnt_dscnt 0x303
	v_mul_f64_e32 v[144:145], v[140:141], v[50:51]
	v_mul_f64_e32 v[50:51], v[136:137], v[50:51]
	s_wait_loadcnt_dscnt 0x202
	v_mul_f64_e32 v[146:147], v[92:93], v[26:27]
	v_fma_f64 v[72:73], v[72:73], v[84:85], v[150:151]
	v_fma_f64 v[42:43], v[80:81], v[84:85], -v[152:153]
	v_mul_f64_e32 v[80:81], v[28:29], v[38:39]
	v_fma_f64 v[38:39], v[74:75], v[40:41], v[154:155]
	v_mul_f64_e32 v[74:75], v[78:79], v[14:15]
	v_fma_f64 v[78:79], v[78:79], v[12:13], v[196:197]
	v_mul_f64_e32 v[84:85], v[56:57], v[34:35]
	v_mul_f64_e32 v[154:155], v[30:31], v[22:23]
	v_dual_mov_b32 v23, 0 :: v_dual_add_nc_u32 v22, 0xffffff9c, v96
	v_add_f64_e32 v[192:193], v[130:131], v[134:135]
	v_add_f64_e32 v[196:197], v[126:127], v[132:133]
	v_add_f64_e64 v[60:61], v[88:89], -v[126:127]
	s_wait_alu 0xf1ff
	v_cndmask_b32_e64 v34, v22, v96, s0
	s_delay_alu instid0(VALU_DEP_1)
	v_mul_i32_i24_e32 v22, 3, v34
	v_fma_f64 v[150:151], v[28:29], v[36:37], v[178:179]
	v_fma_f64 v[152:153], v[30:31], v[20:21], v[180:181]
	s_wait_loadcnt 0x1
	v_mul_f64_e32 v[178:179], v[90:91], v[6:7]
	v_fma_f64 v[28:29], v[56:57], v[32:33], v[184:185]
	v_fma_f64 v[14:15], v[58:59], v[16:17], v[186:187]
	v_mul_f64_e32 v[56:57], v[58:59], v[18:19]
	v_mul_f64_e32 v[58:59], v[2:3], v[26:27]
	v_fma_f64 v[18:19], v[122:123], v[52:53], v[188:189]
	ds_load_b64 v[122:123], v173
	v_fma_f64 v[136:137], v[136:137], v[48:49], v[144:145]
	s_wait_loadcnt_dscnt 0x2
	v_mul_f64_e32 v[144:145], v[148:149], v[10:11]
	v_fma_f64 v[30:31], v[2:3], v[24:25], v[146:147]
	v_fma_f64 v[2:3], v[82:83], v[40:41], -v[190:191]
	v_fma_f64 v[40:41], v[138:139], v[52:53], -v[54:55]
	;; [unrolled: 1-line block ×3, first 2 shown]
	v_mul_f64_e32 v[48:49], v[0:1], v[6:7]
	v_mul_f64_e32 v[10:11], v[118:119], v[10:11]
	v_add_f64_e64 v[138:139], v[44:45], -v[86:87]
	v_add_f64_e64 v[180:181], v[86:87], -v[44:45]
	global_wb scope:SCOPE_SE
	s_wait_dscnt 0x0
	v_add_f64_e32 v[194:195], v[88:89], v[42:43]
	v_fma_f64 v[35:36], v[68:69], v[36:37], -v[80:81]
	v_add_f64_e64 v[68:69], v[128:129], -v[124:125]
	v_fma_f64 v[12:13], v[62:63], v[12:13], -v[74:75]
	v_add_f64_e64 v[62:63], v[42:43], -v[132:133]
	v_fma_f64 v[26:27], v[64:65], v[32:33], -v[84:85]
	v_fma_f64 v[52:53], v[70:71], v[20:21], -v[154:155]
	v_add_f64_e64 v[70:71], v[142:143], -v[72:73]
	v_add_f64_e64 v[74:75], v[126:127], -v[88:89]
	;; [unrolled: 1-line block ×3, first 2 shown]
	v_lshlrev_b64_e32 v[32:33], 4, v[22:23]
	v_add_f64_e32 v[198:199], v[76:77], v[38:39]
	v_and_b32_e32 v37, 0xffff, v107
	v_lshrrev_b16 v22, 2, v115
	s_barrier_signal -1
	s_barrier_wait -1
	v_add_co_u32 v6, s0, s4, v32
	s_wait_alu 0xf1ff
	v_add_co_ci_u32_e64 v7, s0, s5, v33, s0
	v_fma_f64 v[50:51], v[0:1], v[4:5], v[178:179]
	v_add_f64_e64 v[54:55], v[28:29], -v[150:151]
	v_add_f64_e64 v[84:85], v[14:15], -v[152:153]
	v_fma_f64 v[0:1], v[66:67], v[16:17], -v[56:57]
	v_fma_f64 v[24:25], v[92:93], v[24:25], -v[58:59]
	v_add_f64_e64 v[56:57], v[124:125], -v[128:129]
	v_add_f64_e64 v[58:59], v[72:73], -v[142:143]
	;; [unrolled: 1-line block ×3, first 2 shown]
	v_fma_f64 v[20:21], v[118:119], v[8:9], v[144:145]
	v_add_f64_e64 v[64:65], v[136:137], -v[18:19]
	v_add_f64_e64 v[66:67], v[150:151], -v[28:29]
	;; [unrolled: 1-line block ×12, first 2 shown]
	v_add_f64_e32 v[32:33], v[136:137], v[150:151]
	v_add_f64_e32 v[190:191], v[18:19], v[28:29]
	v_add_f64_e64 v[188:189], v[26:27], -v[35:36]
	v_fma_f64 v[4:5], v[90:91], v[4:5], -v[48:49]
	v_add_f64_e32 v[48:49], v[128:129], v[142:143]
	v_add_f64_e32 v[90:91], v[124:125], v[72:73]
	v_fma_f64 v[8:9], v[148:149], v[8:9], -v[10:11]
	v_add_f64_e32 v[10:11], v[78:79], v[152:153]
	v_add_f64_e32 v[148:149], v[30:31], v[14:15]
	;; [unrolled: 1-line block ×7, first 2 shown]
	v_mul_u32_u24_e32 v107, 0x320, v37
	v_and_b32_e32 v22, 0xffff, v22
	global_inv scope:SCOPE_SE
	v_fma_f64 v[192:193], v[192:193], -0.5, v[50:51]
	v_cmp_lt_u32_e64 s0, 0x63, v96
	v_mul_u32_u24_e32 v22, 0x147b, v22
	v_add_f64_e64 v[200:201], v[24:25], -v[12:13]
	v_add_f64_e32 v[56:57], v[56:57], v[58:59]
	v_add_f64_e32 v[54:55], v[16:17], v[54:55]
	v_add_f64_e64 v[16:17], v[46:47], -v[40:41]
	v_add_f64_e64 v[58:59], v[35:36], -v[26:27]
	v_add_f64_e32 v[65:66], v[64:65], v[66:67]
	v_add_f64_e64 v[67:68], v[0:1], -v[52:53]
	v_add_f64_e32 v[82:83], v[82:83], v[84:85]
	v_add_f64_e32 v[84:85], v[116:117], v[18:19]
	;; [unrolled: 1-line block ×7, first 2 shown]
	v_add_f64_e64 v[178:179], v[12:13], -v[24:25]
	v_add_f64_e32 v[180:181], v[180:181], v[184:185]
	v_add_f64_e64 v[184:185], v[52:53], -v[0:1]
	v_add_f64_e32 v[146:147], v[146:147], v[154:155]
	v_add_f64_e32 v[154:155], v[50:51], v[76:77]
	;; [unrolled: 1-line block ×3, first 2 shown]
	v_add_f64_e64 v[188:189], v[128:129], -v[142:143]
	v_fma_f64 v[32:33], v[32:33], -0.5, v[116:117]
	v_fma_f64 v[190:191], v[190:191], -0.5, v[116:117]
	v_add_f64_e32 v[116:117], v[46:47], v[35:36]
	v_fma_f64 v[48:49], v[48:49], -0.5, v[20:21]
	v_fma_f64 v[20:21], v[90:91], -0.5, v[20:21]
	v_add_f64_e32 v[90:91], v[40:41], v[26:27]
	v_fma_f64 v[10:11], v[10:11], -0.5, v[120:121]
	v_fma_f64 v[120:121], v[148:149], -0.5, v[120:121]
	v_add_f64_e64 v[148:149], v[130:131], -v[134:135]
	v_fma_f64 v[194:195], v[194:195], -0.5, v[8:9]
	v_fma_f64 v[196:197], v[196:197], -0.5, v[8:9]
	v_add_f64_e32 v[8:9], v[8:9], v[88:89]
	v_add_f64_e64 v[124:125], v[124:125], -v[72:73]
	v_fma_f64 v[50:51], v[198:199], -0.5, v[50:51]
	v_add_f64_e32 v[198:199], v[12:13], v[52:53]
	v_fma_f64 v[62:63], v[62:63], -0.5, v[4:5]
	v_fma_f64 v[80:81], v[80:81], -0.5, v[4:5]
	v_add_f64_e32 v[4:5], v[4:5], v[44:45]
	v_add_f64_e64 v[76:77], v[76:77], -v[38:39]
	v_add_f64_e64 v[88:89], v[88:89], -v[42:43]
	;; [unrolled: 1-line block ×3, first 2 shown]
	v_add_f64_e32 v[58:59], v[16:17], v[58:59]
	v_add_f64_e32 v[16:17], v[24:25], v[0:1]
	;; [unrolled: 1-line block ×5, first 2 shown]
	v_add_f64_e64 v[136:137], v[136:137], -v[150:151]
	v_add_f64_e32 v[118:119], v[118:119], v[128:129]
	v_add_f64_e64 v[128:129], v[126:127], -v[132:133]
	v_add_f64_e32 v[140:141], v[140:141], v[78:79]
	v_add_f64_e64 v[78:79], v[78:79], -v[152:153]
	v_add_f64_e64 v[40:41], v[40:41], -v[26:27]
	;; [unrolled: 1-line block ×3, first 2 shown]
	v_add_f64_e32 v[178:179], v[178:179], v[184:185]
	v_add_f64_e64 v[184:185], v[86:87], -v[94:95]
	v_add_f64_e32 v[130:131], v[154:155], v[130:131]
	v_add_f64_e32 v[154:155], v[182:183], v[24:25]
	v_add_nc_u32_e32 v64, 0x5400, v173
	v_fma_f64 v[202:203], v[116:117], -0.5, v[122:123]
	v_fma_f64 v[90:91], v[90:91], -0.5, v[122:123]
	v_fma_f64 v[116:117], v[188:189], s[14:15], v[194:195]
	v_fma_f64 v[122:123], v[188:189], s[2:3], v[194:195]
	v_add_f64_e32 v[8:9], v[8:9], v[126:127]
	v_fma_f64 v[126:127], v[124:125], s[2:3], v[196:197]
	v_fma_f64 v[194:195], v[124:125], s[14:15], v[196:197]
	v_fma_f64 v[196:197], v[198:199], -0.5, v[182:183]
	v_add_f64_e32 v[4:5], v[4:5], v[86:87]
	v_fma_f64 v[86:87], v[76:77], s[2:3], v[80:81]
	v_fma_f64 v[80:81], v[76:77], s[14:15], v[80:81]
	v_fma_f64 v[182:183], v[16:17], -0.5, v[182:183]
	v_fma_f64 v[16:17], v[148:149], s[14:15], v[62:63]
	v_fma_f64 v[62:63], v[148:149], s[2:3], v[62:63]
	v_add_f64_e32 v[198:199], v[67:68], v[46:47]
	v_add_f64_e32 v[84:85], v[84:85], v[150:151]
	v_add_f64_e64 v[46:47], v[46:47], -v[35:36]
	v_fma_f64 v[67:68], v[128:129], s[2:3], v[20:21]
	v_fma_f64 v[150:151], v[128:129], s[14:15], v[20:21]
	v_add_f64_e32 v[142:143], v[118:119], v[142:143]
	v_fma_f64 v[118:119], v[88:89], s[14:15], v[48:49]
	v_fma_f64 v[48:49], v[88:89], s[2:3], v[48:49]
	v_add_f64_e32 v[140:141], v[140:141], v[152:153]
	;; [unrolled: 3-line block ×3, first 2 shown]
	v_add_f64_e64 v[12:13], v[12:13], -v[52:53]
	v_add_f64_e32 v[130:131], v[130:131], v[134:135]
	v_lshrrev_b16 v21, 2, v100
	v_lshl_add_u32 v20, v106, 3, 0
	v_fma_f64 v[134:135], v[136:137], s[14:15], v[90:91]
	v_fma_f64 v[90:91], v[136:137], s[2:3], v[90:91]
	;; [unrolled: 1-line block ×8, first 2 shown]
	v_add_f64_e64 v[194:195], v[24:25], -v[0:1]
	v_add_f64_e32 v[8:9], v[8:9], v[132:133]
	v_add_f64_e32 v[4:5], v[4:5], v[94:95]
	v_add_nc_u32_e32 v117, 0x3600, v173
	v_fma_f64 v[80:81], v[148:149], s[12:13], v[80:81]
	v_fma_f64 v[206:207], v[76:77], s[6:7], v[16:17]
	;; [unrolled: 1-line block ×4, first 2 shown]
	v_add_f64_e64 v[148:149], v[18:19], -v[28:29]
	v_add_f64_e32 v[35:36], v[198:199], v[35:36]
	v_fma_f64 v[86:87], v[88:89], s[12:13], v[67:68]
	v_fma_f64 v[88:89], v[88:89], s[6:7], v[150:151]
	v_add_f64_e32 v[71:72], v[142:143], v[72:73]
	v_fma_f64 v[150:151], v[128:129], s[12:13], v[118:119]
	v_fma_f64 v[48:49], v[128:129], s[6:7], v[48:49]
	;; [unrolled: 1-line block ×8, first 2 shown]
	v_add_f64_e32 v[52:53], v[154:155], v[52:53]
	v_fma_f64 v[154:155], v[30:31], s[2:3], v[196:197]
	v_add_f64_e32 v[37:38], v[130:131], v[38:39]
	v_add_f64_e32 v[28:29], v[84:85], v[28:29]
	;; [unrolled: 1-line block ×3, first 2 shown]
	v_lshrrev_b16 v16, 2, v111
	v_and_b32_e32 v17, 0xffff, v21
	v_lshrrev_b32_e32 v19, 17, v22
	v_fma_f64 v[204:205], v[74:75], s[16:17], v[204:205]
	v_fma_f64 v[74:75], v[74:75], s[16:17], v[122:123]
	;; [unrolled: 1-line block ×11, first 2 shown]
	v_and_b32_e32 v16, 0xffff, v16
	v_mul_u32_u24_e32 v24, 0x147b, v17
	v_add_f64_e32 v[8:9], v[8:9], v[42:43]
	v_fma_f64 v[188:189], v[180:181], s[16:17], v[206:207]
	v_fma_f64 v[62:63], v[180:181], s[16:17], v[62:63]
	;; [unrolled: 1-line block ×20, first 2 shown]
	v_mul_u32_u24_e32 v25, 0x147b, v16
	v_lshrrev_b32_e32 v18, 17, v24
	v_add_f64_e32 v[0:1], v[52:53], v[0:1]
	v_add_f64_e32 v[2:3], v[4:5], v[2:3]
	v_mul_f64_e32 v[88:89], s[14:15], v[204:205]
	v_lshrrev_b32_e32 v24, 17, v25
	v_fma_f64 v[123:124], v[92:93], s[16:17], v[124:125]
	v_fma_f64 v[92:93], v[92:93], s[16:17], v[184:185]
	;; [unrolled: 1-line block ×7, first 2 shown]
	v_mul_f64_e32 v[56:57], s[12:13], v[126:127]
	v_mul_f64_e32 v[150:151], s[14:15], v[74:75]
	;; [unrolled: 1-line block ×8, first 2 shown]
	v_fma_f64 v[94:95], v[136:137], s[6:7], v[132:133]
	v_fma_f64 v[132:133], v[136:137], s[12:13], v[138:139]
	v_mul_f64_e32 v[62:63], s[20:21], v[62:63]
	v_fma_f64 v[136:137], v[30:31], s[6:7], v[196:197]
	v_fma_f64 v[30:31], v[30:31], s[12:13], v[182:183]
	;; [unrolled: 1-line block ×3, first 2 shown]
	v_mul_f64_e32 v[80:81], s[22:23], v[80:81]
	v_fma_f64 v[128:129], v[65:66], s[16:17], v[128:129]
	v_fma_f64 v[39:40], v[65:66], s[16:17], v[40:41]
	v_mul_f64_e32 v[65:66], s[18:19], v[126:127]
	v_mul_f64_e32 v[125:126], s[16:17], v[204:205]
	v_fma_f64 v[50:51], v[54:55], s[16:17], v[50:51]
	v_fma_f64 v[32:33], v[54:55], s[16:17], v[32:33]
	v_mul_f64_e32 v[54:55], s[22:23], v[60:61]
	v_mul_f64_e32 v[60:61], s[18:19], v[76:77]
	;; [unrolled: 1-line block ×3, first 2 shown]
	v_mul_lo_u16 v25, 0x64, v19
	v_fma_f64 v[52:53], v[58:59], s[16:17], v[130:131]
	v_fma_f64 v[58:59], v[58:59], s[16:17], v[90:91]
	v_add_f64_e32 v[4:5], v[28:29], v[71:72]
	v_mul_lo_u16 v22, 0x64, v18
	v_sub_nc_u16 v109, v115, v25
	v_fma_f64 v[88:89], v[86:87], s[16:17], v[88:89]
	v_add_f64_e32 v[25:26], v[35:36], v[26:27]
	v_add_f64_e64 v[27:28], v[28:29], -v[71:72]
	v_add_f64_e32 v[35:36], v[84:85], v[37:38]
	v_add_f64_e64 v[37:38], v[84:85], -v[37:38]
	v_fma_f64 v[121:122], v[82:83], s[16:17], v[121:122]
	v_fma_f64 v[10:11], v[82:83], s[16:17], v[10:11]
	v_fma_f64 v[84:85], v[200:201], s[16:17], v[134:135]
	v_fma_f64 v[56:57], v[12:13], s[18:19], v[56:57]
	v_fma_f64 v[138:139], v[69:70], s[20:21], v[150:151]
	v_fma_f64 v[69:70], v[69:70], s[2:3], v[73:74]
	v_fma_f64 v[140:141], v[48:49], s[22:23], v[190:191]
	v_fma_f64 v[46:47], v[146:147], s[16:17], v[46:47]
	v_fma_f64 v[119:120], v[146:147], s[16:17], v[119:120]
	v_fma_f64 v[142:143], v[152:153], s[16:17], v[184:185]
	v_fma_f64 v[82:83], v[123:124], s[18:19], v[144:145]
	v_fma_f64 v[41:42], v[186:187], s[16:17], v[94:95]
	v_fma_f64 v[71:72], v[186:187], s[16:17], v[132:133]
	v_fma_f64 v[144:145], v[44:45], s[20:21], v[192:193]
	v_fma_f64 v[73:74], v[178:179], s[16:17], v[136:137]
	v_fma_f64 v[29:30], v[178:179], s[16:17], v[30:31]
	v_fma_f64 v[43:44], v[44:45], s[2:3], v[62:63]
	v_fma_f64 v[146:147], v[92:93], s[22:23], v[194:195]
	v_fma_f64 v[77:78], v[200:201], s[16:17], v[78:79]
	v_fma_f64 v[62:63], v[92:93], s[6:7], v[80:81]
	v_fma_f64 v[12:13], v[12:13], s[6:7], v[65:66]
	v_fma_f64 v[65:66], v[86:87], s[2:3], v[125:126]
	v_add_f64_e32 v[125:126], v[0:1], v[2:3]
	v_sub_nc_u16 v22, v100, v22
	v_fma_f64 v[48:49], v[48:49], s[6:7], v[54:55]
	v_fma_f64 v[54:55], v[123:124], s[6:7], v[60:61]
	;; [unrolled: 1-line block ×3, first 2 shown]
	v_mul_lo_u16 v67, 0x64, v24
	v_and_b32_e32 v14, 0xffff, v22
	v_add3_u32 v22, 0, v107, v103
	v_lshl_add_u32 v21, v111, 3, 0
	v_add_nc_u32_e32 v16, 0x2c00, v173
	v_sub_nc_u16 v67, v111, v67
	v_add_f64_e32 v[79:80], v[128:129], v[88:89]
	v_mul_u32_u24_e32 v103, 3, v14
	v_add_nc_u32_e32 v68, 0x4a00, v173
	v_add_nc_u32_e32 v17, 0x2200, v173
	;; [unrolled: 1-line block ×3, first 2 shown]
	v_and_b32_e32 v15, 0xffff, v109
	v_lshlrev_b32_e32 v107, 3, v14
	v_mul_u32_u24_e32 v24, 0xc80, v24
	v_add_f64_e32 v[75:76], v[50:51], v[56:57]
	v_add_f64_e64 v[50:51], v[50:51], -v[56:57]
	v_add_f64_e64 v[56:57], v[128:129], -v[88:89]
	v_add_f64_e32 v[86:87], v[39:40], v[138:139]
	v_add_f64_e32 v[133:134], v[58:59], v[69:70]
	;; [unrolled: 1-line block ×3, first 2 shown]
	v_add_f64_e64 v[58:59], v[58:59], -v[69:70]
	v_add_f64_e32 v[88:89], v[121:122], v[82:83]
	v_add_f64_e64 v[81:82], v[121:122], -v[82:83]
	v_add_f64_e32 v[121:122], v[25:26], v[8:9]
	v_add_f64_e64 v[25:26], v[25:26], -v[8:9]
	v_add_f64_e64 v[39:40], v[39:40], -v[138:139]
	;; [unrolled: 1-line block ×3, first 2 shown]
	v_add_f64_e32 v[92:93], v[46:47], v[142:143]
	v_add_f64_e32 v[94:95], v[119:120], v[144:145]
	;; [unrolled: 1-line block ×3, first 2 shown]
	v_add_f64_e64 v[45:46], v[46:47], -v[142:143]
	v_add_f64_e32 v[129:130], v[41:42], v[12:13]
	v_add_f64_e32 v[131:132], v[52:53], v[65:66]
	v_add_f64_e64 v[135:136], v[41:42], -v[12:13]
	v_add_f64_e64 v[65:66], v[52:53], -v[65:66]
	v_add_f64_e32 v[69:70], v[71:72], v[48:49]
	v_add_f64_e64 v[71:72], v[71:72], -v[48:49]
	v_add_f64_e32 v[137:138], v[84:85], v[54:55]
	v_add_f64_e32 v[139:140], v[73:74], v[60:61]
	v_add_f64_e64 v[60:61], v[73:74], -v[60:61]
	v_add_f64_e32 v[73:74], v[29:30], v[43:44]
	v_add_f64_e64 v[119:120], v[119:120], -v[144:145]
	v_add_f64_e64 v[127:128], v[0:1], -v[2:3]
	v_add_f64_e32 v[143:144], v[77:78], v[62:63]
	v_add_f64_e64 v[83:84], v[84:85], -v[54:55]
	v_add_f64_e64 v[10:11], v[10:11], -v[146:147]
	;; [unrolled: 1-line block ×4, first 2 shown]
	ds_store_2addr_b64 v22, v[4:5], v[75:76] offset1:10
	ds_store_2addr_b64 v22, v[79:80], v[86:87] offset0:20 offset1:30
	ds_store_2addr_b64 v22, v[90:91], v[27:28] offset0:40 offset1:50
	;; [unrolled: 1-line block ×4, first 2 shown]
	ds_store_2addr_b64 v101, v[35:36], v[88:89] offset1:10
	ds_store_2addr_b64 v101, v[92:93], v[94:95] offset0:20 offset1:30
	ds_store_2addr_b64 v101, v[123:124], v[37:38] offset0:40 offset1:50
	;; [unrolled: 1-line block ×4, first 2 shown]
	global_wb scope:SCOPE_SE
	s_wait_dscnt 0x0
	s_barrier_signal -1
	s_barrier_wait -1
	global_inv scope:SCOPE_SE
	ds_load_b64 v[10:11], v97
	ds_load_b64 v[4:5], v21
	;; [unrolled: 1-line block ×5, first 2 shown]
	ds_load_b64 v[93:94], v173 offset:24320
	ds_load_2addr_stride64_b64 v[0:3], v173 offset1:15
	ds_load_2addr_b64 v[28:31], v16 offset0:32 offset1:192
	ds_load_2addr_b64 v[35:38], v68 offset0:32 offset1:192
	;; [unrolled: 1-line block ×6, first 2 shown]
	global_wb scope:SCOPE_SE
	s_wait_dscnt 0x0
	s_barrier_signal -1
	s_barrier_wait -1
	global_inv scope:SCOPE_SE
	ds_store_2addr_b64 v22, v[121:122], v[129:130] offset1:10
	ds_store_2addr_b64 v22, v[131:132], v[133:134] offset0:20 offset1:30
	ds_store_2addr_b64 v22, v[69:70], v[25:26] offset0:40 offset1:50
	;; [unrolled: 1-line block ×4, first 2 shown]
	ds_store_2addr_b64 v101, v[125:126], v[137:138] offset1:10
	ds_store_2addr_b64 v101, v[139:140], v[73:74] offset0:20 offset1:30
	ds_store_2addr_b64 v101, v[143:144], v[127:128] offset0:40 offset1:50
	;; [unrolled: 1-line block ×4, first 2 shown]
	v_and_b32_e32 v25, 0xffff, v67
	v_lshlrev_b32_e32 v22, 4, v103
	v_mul_u32_u24_e32 v26, 3, v15
	global_wb scope:SCOPE_SE
	s_wait_dscnt 0x0
	s_barrier_signal -1
	v_mul_u32_u24_e32 v63, 3, v25
	s_barrier_wait -1
	global_inv scope:SCOPE_SE
	s_clause 0x1
	global_load_b128 v[55:58], v[6:7], off offset:1472
	global_load_b128 v[59:62], v22, s[4:5] offset:1472
	v_lshrrev_b16 v27, 2, v102
	v_lshlrev_b32_e32 v65, 4, v26
	v_lshlrev_b32_e32 v63, 4, v63
	v_mul_u32_u24_e32 v101, 0xc80, v18
	v_mul_u32_u24_e32 v103, 0xc80, v19
	v_and_b32_e32 v26, 0xffff, v27
	s_clause 0x3
	global_load_b128 v[69:72], v65, s[4:5] offset:1440
	global_load_b128 v[81:84], v63, s[4:5] offset:1472
	;; [unrolled: 1-line block ×4, first 2 shown]
	v_mul_u32_u24_e32 v26, 0x147b, v26
	v_lshlrev_b32_e32 v15, 3, v15
	v_lshlrev_b32_e32 v25, 3, v25
	s_delay_alu instid0(VALU_DEP_3) | instskip(NEXT) | instid1(VALU_DEP_3)
	v_lshrrev_b32_e32 v27, 17, v26
	v_add3_u32 v15, 0, v103, v15
	s_delay_alu instid0(VALU_DEP_2) | instskip(SKIP_1) | instid1(VALU_DEP_2)
	v_mul_lo_u16 v26, 0x64, v27
	v_mul_u32_u24_e32 v105, 0xc80, v27
	v_sub_nc_u16 v26, v102, v26
	s_delay_alu instid0(VALU_DEP_1) | instskip(NEXT) | instid1(VALU_DEP_1)
	v_and_b32_e32 v26, 0xffff, v26
	v_mul_u32_u24_e32 v66, 3, v26
	v_lshlrev_b32_e32 v26, 3, v26
	s_delay_alu instid0(VALU_DEP_2)
	v_lshlrev_b32_e32 v66, 4, v66
	s_clause 0x8
	global_load_b128 v[85:88], v22, s[4:5] offset:1456
	global_load_b128 v[89:92], v65, s[4:5] offset:1456
	global_load_b128 v[119:122], v[6:7], off offset:1456
	global_load_b128 v[123:126], v66, s[4:5] offset:1440
	global_load_b128 v[127:130], v63, s[4:5] offset:1456
	;; [unrolled: 1-line block ×3, first 2 shown]
	global_load_b128 v[135:138], v[6:7], off offset:1440
	global_load_b128 v[139:142], v22, s[4:5] offset:1440
	global_load_b128 v[143:146], v66, s[4:5] offset:1472
	ds_load_2addr_b64 v[147:150], v68 offset0:32 offset1:192
	ds_load_2addr_b64 v[151:154], v17 offset0:32 offset1:192
	;; [unrolled: 1-line block ×6, first 2 shown]
	v_lshlrev_b32_e32 v63, 3, v34
	s_wait_alu 0xf1ff
	v_cndmask_b32_e64 v22, 0, 0xc80, s0
	v_cmp_gt_u32_e64 s0, 0x50, v96
	v_add3_u32 v103, 0, v105, v26
	ds_load_b64 v[204:205], v174
	v_add3_u32 v63, 0, v22, v63
	v_mul_i32_i24_e32 v22, 3, v100
	v_add_nc_u32_e32 v112, 0x400, v103
	s_delay_alu instid0(VALU_DEP_3) | instskip(NEXT) | instid1(VALU_DEP_3)
	v_add_nc_u32_e32 v95, 0x400, v63
	v_lshlrev_b64_e32 v[18:19], 4, v[22:23]
	s_wait_loadcnt_dscnt 0xe06
	v_mul_f64_e32 v[6:7], v[147:148], v[57:58]
	v_mul_f64_e32 v[57:58], v[35:36], v[57:58]
	s_wait_loadcnt 0xd
	v_mul_f64_e32 v[65:66], v[149:150], v[61:62]
	v_mul_f64_e32 v[61:62], v[37:38], v[61:62]
	s_wait_loadcnt_dscnt 0xc05
	v_mul_f64_e32 v[194:195], v[151:152], v[71:72]
	v_mul_f64_e32 v[71:72], v[43:44], v[71:72]
	s_wait_loadcnt 0xa
	v_mul_f64_e32 v[196:197], v[153:154], v[75:76]
	v_mul_f64_e32 v[75:76], v[45:46], v[75:76]
	s_wait_loadcnt_dscnt 0x904
	v_mul_f64_e32 v[198:199], v[178:179], v[79:80]
	v_fma_f64 v[6:7], v[35:36], v[55:56], v[6:7]
	v_fma_f64 v[55:56], v[147:148], v[55:56], -v[57:58]
	v_mul_f64_e32 v[57:58], v[47:48], v[79:80]
	v_fma_f64 v[65:66], v[37:38], v[59:60], v[65:66]
	v_fma_f64 v[59:60], v[149:150], v[59:60], -v[61:62]
	s_wait_loadcnt_dscnt 0x803
	v_mul_f64_e32 v[61:62], v[182:183], v[87:88]
	s_wait_loadcnt 0x7
	v_mul_f64_e32 v[149:150], v[184:185], v[91:92]
	ds_load_b64 v[79:80], v20
	v_fma_f64 v[43:44], v[43:44], v[69:70], v[194:195]
	v_fma_f64 v[69:70], v[151:152], v[69:70], -v[71:72]
	ds_load_b64 v[151:152], v173 offset:24320
	s_wait_loadcnt_dscnt 0x504
	v_mul_f64_e32 v[71:72], v[186:187], v[125:126]
	v_fma_f64 v[45:46], v[45:46], v[73:74], v[196:197]
	s_wait_loadcnt_dscnt 0x303
	v_mul_f64_e32 v[196:197], v[192:193], v[133:134]
	ds_load_2addr_stride64_b64 v[35:38], v173 offset1:15
	v_mul_f64_e32 v[147:148], v[180:181], v[83:84]
	v_mul_f64_e32 v[200:201], v[188:189], v[121:122]
	v_fma_f64 v[73:74], v[153:154], v[73:74], -v[75:76]
	ds_load_b64 v[75:76], v175
	v_fma_f64 v[47:48], v[47:48], v[77:78], v[198:199]
	v_mul_f64_e32 v[87:88], v[39:40], v[87:88]
	v_mul_f64_e32 v[194:195], v[190:191], v[129:130]
	;; [unrolled: 1-line block ×3, first 2 shown]
	s_wait_loadcnt_dscnt 0x203
	v_mul_f64_e32 v[153:154], v[79:80], v[137:138]
	v_mul_f64_e32 v[137:138], v[32:33], v[137:138]
	s_wait_loadcnt_dscnt 0x101
	v_mul_f64_e32 v[202:203], v[37:38], v[141:142]
	v_fma_f64 v[57:58], v[178:179], v[77:78], -v[57:58]
	s_wait_loadcnt 0x0
	v_mul_f64_e32 v[77:78], v[151:152], v[145:146]
	v_fma_f64 v[39:40], v[39:40], v[85:86], v[61:62]
	v_fma_f64 v[61:62], v[41:42], v[89:90], v[149:150]
	v_mul_f64_e32 v[41:42], v[41:42], v[91:92]
	v_mul_f64_e32 v[91:92], v[30:31], v[121:122]
	;; [unrolled: 1-line block ×4, first 2 shown]
	v_fma_f64 v[71:72], v[28:29], v[123:124], v[71:72]
	v_mul_f64_e32 v[28:29], v[28:29], v[125:126]
	v_fma_f64 v[125:126], v[53:54], v[131:132], v[196:197]
	v_mul_f64_e32 v[53:54], v[53:54], v[133:134]
	v_mul_f64_e32 v[133:134], v[93:94], v[145:146]
	v_fma_f64 v[49:50], v[49:50], v[81:82], v[147:148]
	v_fma_f64 v[30:31], v[30:31], v[119:120], v[200:201]
	v_add_f64_e64 v[47:48], v[43:44], -v[47:48]
	v_fma_f64 v[51:52], v[51:52], v[127:128], v[194:195]
	v_fma_f64 v[81:82], v[180:181], v[81:82], -v[83:84]
	v_fma_f64 v[83:84], v[182:183], v[85:86], -v[87:88]
	v_fma_f64 v[32:33], v[32:33], v[135:136], v[153:154]
	v_fma_f64 v[79:80], v[79:80], v[135:136], -v[137:138]
	v_fma_f64 v[2:3], v[2:3], v[139:140], v[202:203]
	v_add_f64_e64 v[57:58], v[69:70], -v[57:58]
	v_fma_f64 v[77:78], v[93:94], v[143:144], v[77:78]
	v_add_f64_e64 v[39:40], v[10:11], -v[39:40]
	v_add_f64_e64 v[61:62], v[12:13], -v[61:62]
	v_fma_f64 v[41:42], v[184:185], v[89:90], -v[41:42]
	v_fma_f64 v[91:92], v[188:189], v[119:120], -v[91:92]
	;; [unrolled: 1-line block ×4, first 2 shown]
	ds_load_b64 v[93:94], v97
	ds_load_b64 v[119:120], v21
	v_fma_f64 v[28:29], v[186:187], v[123:124], -v[28:29]
	v_add_f64_e64 v[89:90], v[8:9], -v[125:126]
	v_fma_f64 v[53:54], v[192:193], v[131:132], -v[53:54]
	v_fma_f64 v[85:86], v[151:152], v[143:144], -v[133:134]
	v_add_f64_e64 v[49:50], v[45:46], -v[49:50]
	v_add_f64_e64 v[30:31], v[0:1], -v[30:31]
	global_wb scope:SCOPE_SE
	s_wait_dscnt 0x0
	s_barrier_signal -1
	s_barrier_wait -1
	v_add_f64_e64 v[51:52], v[4:5], -v[51:52]
	v_add_f64_e64 v[81:82], v[73:74], -v[81:82]
	global_inv scope:SCOPE_SE
	v_add_f64_e64 v[6:7], v[32:33], -v[6:7]
	v_add_f64_e64 v[55:56], v[79:80], -v[55:56]
	;; [unrolled: 1-line block ×4, first 2 shown]
	v_fma_f64 v[69:70], v[69:70], 2.0, -v[57:58]
	v_add_f64_e64 v[77:78], v[71:72], -v[77:78]
	v_fma_f64 v[10:11], v[10:11], 2.0, -v[39:40]
	v_fma_f64 v[121:122], v[12:13], 2.0, -v[61:62]
	v_add_f64_e64 v[41:42], v[204:205], -v[41:42]
	v_add_f64_e64 v[91:92], v[35:36], -v[91:92]
	;; [unrolled: 1-line block ×4, first 2 shown]
	v_fma_f64 v[12:13], v[43:44], 2.0, -v[47:48]
	v_add_f64_e32 v[57:58], v[61:62], v[57:58]
	v_fma_f64 v[8:9], v[8:9], 2.0, -v[89:90]
	v_add_f64_e64 v[53:54], v[75:76], -v[53:54]
	v_add_f64_e64 v[85:86], v[28:29], -v[85:86]
	v_fma_f64 v[43:44], v[45:46], 2.0, -v[49:50]
	v_fma_f64 v[0:1], v[0:1], 2.0, -v[30:31]
	;; [unrolled: 1-line block ×4, first 2 shown]
	v_add_f64_e32 v[81:82], v[51:52], v[81:82]
	v_fma_f64 v[32:33], v[32:33], 2.0, -v[6:7]
	v_fma_f64 v[2:3], v[2:3], 2.0, -v[65:66]
	v_add_f64_e64 v[65:66], v[83:84], -v[65:66]
	v_fma_f64 v[45:46], v[71:72], 2.0, -v[77:78]
	v_add_f64_e32 v[71:72], v[30:31], v[55:56]
	v_fma_f64 v[55:56], v[79:80], 2.0, -v[55:56]
	v_fma_f64 v[79:80], v[204:205], 2.0, -v[41:42]
	;; [unrolled: 1-line block ×3, first 2 shown]
	v_add_f64_e64 v[125:126], v[41:42], -v[47:48]
	v_add_f64_e32 v[123:124], v[39:40], v[59:60]
	v_fma_f64 v[36:37], v[37:38], 2.0, -v[59:60]
	v_fma_f64 v[59:60], v[93:94], 2.0, -v[83:84]
	;; [unrolled: 1-line block ×5, first 2 shown]
	v_add_f64_e64 v[119:120], v[121:122], -v[12:13]
	v_mul_u32_u24_e32 v12, 3, v96
	v_add_nc_u32_e32 v13, 0xffffffb0, v96
	v_add_f64_e32 v[85:86], v[89:90], v[85:86]
	v_add_f64_e64 v[48:49], v[87:88], -v[49:50]
	v_add_f64_e64 v[43:44], v[4:5], -v[43:44]
	v_lshlrev_b32_e32 v67, 4, v12
	s_wait_alu 0xf1ff
	v_cndmask_b32_e64 v12, v13, v115, s0
	v_add_f64_e64 v[13:14], v[91:92], -v[6:7]
	v_add_f64_e64 v[77:78], v[53:54], -v[77:78]
	v_add_co_u32 v18, s0, s4, v18
	v_add_f64_e64 v[32:33], v[0:1], -v[32:33]
	v_mul_i32_i24_e32 v22, 3, v12
	s_wait_alu 0xf1ff
	v_add_co_ci_u32_e64 v19, s0, s5, v19, s0
	v_lshlrev_b32_e32 v12, 3, v12
	v_add_f64_e64 v[2:3], v[10:11], -v[2:3]
	v_fma_f64 v[83:84], v[83:84], 2.0, -v[65:66]
	v_add_f64_e64 v[45:46], v[8:9], -v[45:46]
	v_fma_f64 v[6:7], v[30:31], 2.0, -v[71:72]
	v_add_f64_e64 v[69:70], v[79:80], -v[69:70]
	v_add_f64_e64 v[55:56], v[34:35], -v[55:56]
	v_fma_f64 v[30:31], v[39:40], 2.0, -v[123:124]
	v_fma_f64 v[38:39], v[51:52], 2.0, -v[81:82]
	v_add_f64_e64 v[127:128], v[59:60], -v[36:37]
	v_add_f64_e64 v[73:74], v[93:94], -v[73:74]
	;; [unrolled: 1-line block ×3, first 2 shown]
	v_fma_f64 v[36:37], v[121:122], 2.0, -v[119:120]
	v_fma_f64 v[27:28], v[61:62], 2.0, -v[57:58]
	v_lshlrev_b64_e32 v[61:62], 4, v[22:23]
	v_fma_f64 v[50:51], v[89:90], 2.0, -v[85:86]
	v_fma_f64 v[87:88], v[87:88], 2.0, -v[48:49]
	;; [unrolled: 1-line block ×3, first 2 shown]
	v_add3_u32 v22, 0, v101, v107
	v_add3_u32 v101, 0, v24, v25
	v_fma_f64 v[89:90], v[91:92], 2.0, -v[13:14]
	v_fma_f64 v[91:92], v[41:42], 2.0, -v[125:126]
	;; [unrolled: 1-line block ×3, first 2 shown]
	v_add_nc_u32_e32 v105, 0x400, v22
	v_fma_f64 v[0:1], v[0:1], 2.0, -v[32:33]
	ds_store_2addr_b64 v95, v[32:33], v[71:72] offset0:72 offset1:172
	v_add_nc_u32_e32 v107, 0x400, v15
	v_add_nc_u32_e32 v109, 0x400, v101
	v_fma_f64 v[10:11], v[10:11], 2.0, -v[2:3]
	v_fma_f64 v[8:9], v[8:9], 2.0, -v[45:46]
	ds_store_2addr_b64 v63, v[0:1], v[6:7] offset1:100
	ds_store_2addr_b64 v22, v[10:11], v[30:31] offset1:100
	ds_store_2addr_b64 v105, v[2:3], v[123:124] offset0:72 offset1:172
	ds_store_2addr_b64 v15, v[36:37], v[27:28] offset1:100
	ds_store_2addr_b64 v107, v[119:120], v[57:58] offset0:72 offset1:172
	;; [unrolled: 2-line block ×4, first 2 shown]
	v_fma_f64 v[121:122], v[34:35], 2.0, -v[55:56]
	v_fma_f64 v[59:60], v[59:60], 2.0, -v[127:128]
	;; [unrolled: 1-line block ×5, first 2 shown]
	global_wb scope:SCOPE_SE
	s_wait_dscnt 0x0
	s_barrier_signal -1
	s_barrier_wait -1
	global_inv scope:SCOPE_SE
	ds_load_2addr_stride64_b64 v[0:3], v173 offset1:15
	ds_load_2addr_b64 v[24:27], v16 offset0:32 offset1:192
	ds_load_b64 v[8:9], v97
	ds_load_b64 v[4:5], v21
	;; [unrolled: 1-line block ×5, first 2 shown]
	ds_load_b64 v[182:183], v173 offset:24320
	ds_load_2addr_b64 v[28:31], v68 offset0:32 offset1:192
	ds_load_2addr_b64 v[32:35], v117 offset0:32 offset1:192
	;; [unrolled: 1-line block ×5, first 2 shown]
	global_wb scope:SCOPE_SE
	s_wait_dscnt 0x0
	s_barrier_signal -1
	s_barrier_wait -1
	global_inv scope:SCOPE_SE
	ds_store_2addr_b64 v63, v[121:122], v[89:90] offset1:100
	ds_store_2addr_b64 v95, v[55:56], v[13:14] offset0:72 offset1:172
	ds_store_2addr_b64 v22, v[59:60], v[83:84] offset1:100
	ds_store_2addr_b64 v105, v[127:128], v[65:66] offset0:72 offset1:172
	;; [unrolled: 2-line block ×5, first 2 shown]
	global_wb scope:SCOPE_SE
	s_wait_dscnt 0x0
	s_barrier_signal -1
	s_barrier_wait -1
	global_inv scope:SCOPE_SE
	s_clause 0x1
	global_load_b128 v[48:51], v67, s[4:5] offset:6272
	global_load_b128 v[52:55], v[18:19], off offset:6272
	v_add_co_u32 v13, s0, s4, v61
	s_wait_alu 0xf1ff
	v_add_co_ci_u32_e64 v14, s0, s5, v62, s0
	s_clause 0xc
	global_load_b128 v[56:59], v[13:14], off offset:6240
	global_load_b128 v[60:63], v67, s[4:5] offset:10080
	global_load_b128 v[69:72], v[13:14], off offset:6272
	global_load_b128 v[73:76], v67, s[4:5] offset:10112
	global_load_b128 v[77:80], v[18:19], off offset:6256
	global_load_b128 v[81:84], v[13:14], off offset:6256
	global_load_b128 v[85:88], v67, s[4:5] offset:6256
	global_load_b128 v[89:92], v67, s[4:5] offset:17760
	;; [unrolled: 1-line block ×6, first 2 shown]
	global_load_b128 v[135:138], v[18:19], off offset:6240
	ds_load_2addr_b64 v[139:142], v68 offset0:32 offset1:192
	ds_load_2addr_b64 v[143:146], v17 offset0:32 offset1:192
	;; [unrolled: 1-line block ×6, first 2 shown]
	ds_load_b64 v[186:187], v20
	ds_load_b64 v[190:191], v173 offset:24320
	v_cmp_lt_u32_e64 s0, 0x4f, v96
	v_lshl_add_u32 v19, v96, 3, 0
	v_lshl_add_u32 v22, v110, 3, 0
	s_delay_alu instid0(VALU_DEP_2)
	v_add_nc_u32_e32 v101, 0x3400, v19
	v_add_nc_u32_e32 v103, 0x4000, v19
	;; [unrolled: 1-line block ×4, first 2 shown]
	s_wait_loadcnt_dscnt 0xc06
	v_mul_f64_e32 v[184:185], v[143:144], v[58:59]
	v_mul_f64_e32 v[58:59], v[36:37], v[58:59]
	s_wait_loadcnt 0xb
	v_mul_f64_e32 v[188:189], v[145:146], v[62:63]
	v_mul_f64_e32 v[17:18], v[139:140], v[50:51]
	;; [unrolled: 1-line block ×5, first 2 shown]
	s_wait_loadcnt_dscnt 0x905
	v_mul_f64_e32 v[194:195], v[149:150], v[75:76]
	s_wait_loadcnt_dscnt 0x704
	v_mul_f64_e32 v[198:199], v[153:154], v[83:84]
	v_mul_f64_e32 v[196:197], v[151:152], v[79:80]
	s_wait_loadcnt_dscnt 0x201
	v_mul_f64_e32 v[204:205], v[186:187], v[129:130]
	v_mul_f64_e32 v[192:193], v[147:148], v[71:72]
	;; [unrolled: 1-line block ×3, first 2 shown]
	v_fma_f64 v[36:37], v[36:37], v[56:57], v[184:185]
	v_fma_f64 v[56:57], v[143:144], v[56:57], -v[58:59]
	s_wait_loadcnt_dscnt 0x100
	v_mul_f64_e32 v[58:59], v[190:191], v[133:134]
	v_fma_f64 v[17:18], v[28:29], v[48:49], v[17:18]
	v_fma_f64 v[28:29], v[139:140], v[48:49], -v[50:51]
	ds_load_2addr_stride64_b64 v[48:51], v173 offset1:15
	v_fma_f64 v[30:31], v[30:31], v[52:53], v[65:66]
	v_mul_f64_e32 v[65:66], v[13:14], v[91:92]
	v_mul_f64_e32 v[139:140], v[15:16], v[87:88]
	v_fma_f64 v[52:53], v[141:142], v[52:53], -v[54:55]
	v_mul_f64_e32 v[54:55], v[180:181], v[125:126]
	v_fma_f64 v[184:185], v[38:39], v[60:61], v[188:189]
	v_mul_f64_e32 v[38:39], v[38:39], v[62:63]
	v_mul_f64_e32 v[62:63], v[40:41], v[71:72]
	v_fma_f64 v[71:72], v[42:43], v[73:74], v[194:195]
	v_mul_f64_e32 v[42:43], v[42:43], v[75:76]
	;; [unrolled: 3-line block ×3, first 2 shown]
	v_mul_f64_e32 v[83:84], v[26:27], v[87:88]
	v_mul_f64_e32 v[87:88], v[44:45], v[121:122]
	s_wait_loadcnt 0x0
	v_mul_f64_e32 v[121:122], v[2:3], v[137:138]
	v_fma_f64 v[32:33], v[32:33], v[77:78], v[196:197]
	v_fma_f64 v[40:41], v[40:41], v[69:70], v[192:193]
	;; [unrolled: 1-line block ×3, first 2 shown]
	s_wait_dscnt 0x0
	v_mul_f64_e32 v[143:144], v[50:51], v[137:138]
	ds_load_b64 v[141:142], v174
	ds_load_b64 v[202:203], v175
	v_fma_f64 v[58:59], v[182:183], v[131:132], v[58:59]
	v_fma_f64 v[65:66], v[24:25], v[89:90], v[65:66]
	v_mul_f64_e32 v[24:25], v[24:25], v[91:92]
	v_mul_f64_e32 v[91:92], v[93:94], v[129:130]
	v_fma_f64 v[26:27], v[26:27], v[85:86], v[139:140]
	v_fma_f64 v[54:55], v[46:47], v[123:124], v[54:55]
	v_mul_f64_e32 v[46:47], v[46:47], v[125:126]
	v_fma_f64 v[93:94], v[93:94], v[127:128], v[204:205]
	v_mul_f64_e32 v[125:126], v[182:183], v[133:134]
	v_fma_f64 v[38:39], v[145:146], v[60:61], -v[38:39]
	v_fma_f64 v[60:61], v[147:148], v[69:70], -v[62:63]
	;; [unrolled: 1-line block ×8, first 2 shown]
	v_add_f64_e64 v[32:33], v[8:9], -v[32:33]
	v_add_f64_e64 v[75:76], v[10:11], -v[79:80]
	v_fma_f64 v[2:3], v[2:3], v[135:136], v[143:144]
	v_add_f64_e64 v[40:41], v[36:37], -v[40:41]
	v_add_f64_e64 v[44:45], v[4:5], -v[44:45]
	;; [unrolled: 1-line block ×3, first 2 shown]
	ds_load_b64 v[77:78], v97
	ds_load_b64 v[79:80], v21
	global_wb scope:SCOPE_SE
	s_wait_dscnt 0x0
	s_barrier_signal -1
	s_barrier_wait -1
	global_inv scope:SCOPE_SE
	v_add_f64_e64 v[58:59], v[65:66], -v[58:59]
	v_fma_f64 v[13:14], v[13:14], v[89:90], -v[24:25]
	v_fma_f64 v[62:63], v[186:187], v[127:128], -v[91:92]
	v_add_f64_e64 v[26:27], v[0:1], -v[26:27]
	v_add_f64_e64 v[54:55], v[6:7], -v[54:55]
	v_fma_f64 v[46:47], v[180:181], v[123:124], -v[46:47]
	v_add_f64_e64 v[17:18], v[93:94], -v[17:18]
	v_fma_f64 v[24:25], v[190:191], v[131:132], -v[125:126]
	v_add_f64_e64 v[60:61], v[56:57], -v[60:61]
	v_add_f64_e64 v[69:70], v[77:78], -v[69:70]
	;; [unrolled: 1-line block ×7, first 2 shown]
	v_fma_f64 v[8:9], v[8:9], 2.0, -v[32:33]
	v_fma_f64 v[10:11], v[10:11], 2.0, -v[75:76]
	v_add_f64_e64 v[30:31], v[2:3], -v[30:31]
	v_fma_f64 v[36:37], v[36:37], 2.0, -v[40:41]
	v_fma_f64 v[4:5], v[4:5], 2.0, -v[44:45]
	;; [unrolled: 1-line block ×4, first 2 shown]
	v_add_f64_e64 v[28:29], v[62:63], -v[28:29]
	v_fma_f64 v[0:1], v[0:1], 2.0, -v[26:27]
	v_fma_f64 v[6:7], v[6:7], 2.0, -v[54:55]
	v_add_f64_e64 v[46:47], v[202:203], -v[46:47]
	v_fma_f64 v[81:82], v[93:94], 2.0, -v[17:18]
	v_add_f64_e64 v[24:25], v[13:14], -v[24:25]
	v_fma_f64 v[56:57], v[56:57], 2.0, -v[60:61]
	v_add_f64_e32 v[60:61], v[75:76], v[60:61]
	v_fma_f64 v[38:39], v[38:39], 2.0, -v[42:43]
	v_fma_f64 v[48:49], v[48:49], 2.0, -v[15:16]
	v_add_f64_e32 v[42:43], v[44:45], v[42:43]
	v_fma_f64 v[50:51], v[50:51], 2.0, -v[52:53]
	v_fma_f64 v[79:80], v[79:80], 2.0, -v[73:74]
	v_add_f64_e32 v[52:53], v[32:33], v[52:53]
	v_add_f64_e64 v[92:93], v[15:16], -v[17:18]
	v_fma_f64 v[2:3], v[2:3], 2.0, -v[30:31]
	v_add_f64_e64 v[36:37], v[10:11], -v[36:37]
	v_add_f64_e64 v[30:31], v[69:70], -v[30:31]
	;; [unrolled: 1-line block ×5, first 2 shown]
	s_wait_alu 0xf1ff
	v_cndmask_b32_e64 v71, 0, 0x3200, s0
	s_delay_alu instid0(VALU_DEP_1)
	v_add3_u32 v71, 0, v71, v12
	v_add_f64_e32 v[85:86], v[26:27], v[28:29]
	v_fma_f64 v[28:29], v[62:63], 2.0, -v[28:29]
	v_fma_f64 v[62:63], v[77:78], 2.0, -v[69:70]
	;; [unrolled: 1-line block ×5, first 2 shown]
	v_add_f64_e64 v[81:82], v[0:1], -v[81:82]
	v_add_f64_e64 v[66:67], v[6:7], -v[65:66]
	v_add_f64_e32 v[24:25], v[54:55], v[24:25]
	v_add_f64_e64 v[58:59], v[46:47], -v[58:59]
	v_lshl_add_u32 v65, v113, 3, 0
	v_fma_f64 v[44:45], v[44:45], 2.0, -v[42:43]
	v_add_f64_e64 v[38:39], v[79:80], -v[38:39]
	v_fma_f64 v[119:120], v[15:16], 2.0, -v[92:93]
	v_add_f64_e64 v[2:3], v[8:9], -v[2:3]
	v_fma_f64 v[10:11], v[10:11], 2.0, -v[36:37]
	v_fma_f64 v[69:70], v[69:70], 2.0, -v[30:31]
	;; [unrolled: 1-line block ×6, first 2 shown]
	v_add_f64_e64 v[26:27], v[48:49], -v[28:29]
	v_add_f64_e64 v[28:29], v[62:63], -v[50:51]
	;; [unrolled: 1-line block ×3, first 2 shown]
	ds_store_b64 v173, v[17:18] offset:3200
	ds_store_b64 v173, v[85:86] offset:9600
	;; [unrolled: 1-line block ×3, first 2 shown]
	v_add_f64_e64 v[56:57], v[87:88], -v[13:14]
	v_fma_f64 v[0:1], v[0:1], 2.0, -v[81:82]
	v_fma_f64 v[8:9], v[8:9], 2.0, -v[2:3]
	;; [unrolled: 1-line block ×10, first 2 shown]
	ds_store_b64 v173, v[0:1]
	ds_store_b64 v97, v[8:9]
	ds_store_b64 v97, v[13:14] offset:3200
	ds_store_b64 v97, v[2:3] offset:6400
	;; [unrolled: 1-line block ×3, first 2 shown]
	ds_store_b64 v71, v[10:11]
	ds_store_b64 v71, v[32:33] offset:3200
	ds_store_b64 v71, v[36:37] offset:6400
	;; [unrolled: 1-line block ×3, first 2 shown]
	ds_store_2addr_b64 v101, v[4:5], v[6:7] offset0:16 offset1:176
	ds_store_2addr_b64 v103, v[44:45], v[54:55] offset0:32 offset1:192
	;; [unrolled: 1-line block ×4, first 2 shown]
	v_fma_f64 v[127:128], v[87:88], 2.0, -v[56:57]
	global_wb scope:SCOPE_SE
	s_wait_dscnt 0x0
	s_barrier_signal -1
	s_barrier_wait -1
	global_inv scope:SCOPE_SE
	ds_load_2addr_stride64_b64 v[0:3], v173 offset1:25
	ds_load_2addr_b64 v[12:15], v117 offset0:32 offset1:192
	ds_load_2addr_b64 v[8:11], v118 offset0:32 offset1:192
	;; [unrolled: 1-line block ×3, first 2 shown]
	ds_load_b64 v[74:75], v176
	ds_load_b64 v[72:73], v22
	ds_load_b64 v[82:83], v21
	ds_load_b64 v[80:81], v20
	ds_load_b64 v[76:77], v177
	ds_load_b64 v[86:87], v97
	ds_load_b64 v[78:79], v65
	ds_load_b64 v[84:85], v175
	ds_load_b64 v[88:89], v174
	ds_load_b64 v[90:91], v173 offset:24320
	ds_load_2addr_b64 v[16:19], v64 offset0:32 offset1:192
	v_fma_f64 v[46:47], v[46:47], 2.0, -v[58:59]
	global_wb scope:SCOPE_SE
	s_wait_dscnt 0x0
	s_barrier_signal -1
	s_barrier_wait -1
	global_inv scope:SCOPE_SE
	ds_store_b64 v173, v[48:49]
	ds_store_b64 v173, v[119:120] offset:3200
	ds_store_b64 v173, v[26:27] offset:6400
	ds_store_b64 v173, v[92:93] offset:9600
	ds_store_b64 v97, v[62:63]
	ds_store_b64 v97, v[69:70] offset:3200
	ds_store_b64 v97, v[28:29] offset:6400
	ds_store_b64 v97, v[30:31] offset:9600
	;; [unrolled: 4-line block ×3, first 2 shown]
	ds_store_2addr_b64 v101, v[125:126], v[127:128] offset0:16 offset1:176
	ds_store_2addr_b64 v103, v[121:122], v[46:47] offset0:32 offset1:192
	;; [unrolled: 1-line block ×4, first 2 shown]
	global_wb scope:SCOPE_SE
	s_wait_dscnt 0x0
	s_barrier_signal -1
	s_barrier_wait -1
	global_inv scope:SCOPE_SE
	s_and_saveexec_b32 s0, vcc_lo
	s_cbranch_execz .LBB0_15
; %bb.14:
	v_dual_mov_b32 v116, v23 :: v_dual_mov_b32 v101, v23
	v_dual_mov_b32 v114, v23 :: v_dual_mov_b32 v97, v23
	;; [unrolled: 1-line block ×3, first 2 shown]
	s_delay_alu instid0(VALU_DEP_3) | instskip(NEXT) | instid1(VALU_DEP_4)
	v_lshlrev_b64_e32 v[24:25], 4, v[115:116]
	v_lshlrev_b64_e32 v[26:27], 4, v[100:101]
	s_delay_alu instid0(VALU_DEP_4)
	v_lshlrev_b64_e32 v[28:29], 4, v[113:114]
	v_lshlrev_b64_e32 v[30:31], 4, v[96:97]
	v_mul_i32_i24_e32 v150, 0xffffffb8, v100
	v_lshlrev_b64_e32 v[40:41], 4, v[108:109]
	v_add_co_u32 v24, vcc_lo, s4, v24
	s_wait_alu 0xfffd
	v_add_co_ci_u32_e32 v25, vcc_lo, s5, v25, vcc_lo
	v_add_co_u32 v32, vcc_lo, s4, v26
	s_wait_alu 0xfffd
	v_add_co_ci_u32_e32 v33, vcc_lo, s5, v27, vcc_lo
	v_lshlrev_b64_e32 v[26:27], 4, v[111:112]
	v_add_co_u32 v28, vcc_lo, s4, v28
	v_dual_mov_b32 v111, v23 :: v_dual_add_nc_u32 v150, v172, v150
	s_wait_alu 0xfffd
	v_add_co_ci_u32_e32 v29, vcc_lo, s5, v29, vcc_lo
	s_delay_alu instid0(VALU_DEP_4)
	v_add_co_u32 v26, vcc_lo, s4, v26
	v_mov_b32_e32 v107, v23
	s_wait_alu 0xfffd
	v_add_co_ci_u32_e32 v27, vcc_lo, s5, v27, vcc_lo
	v_add_co_u32 v36, vcc_lo, s4, v30
	v_lshlrev_b64_e32 v[42:43], 4, v[110:111]
	v_mov_b32_e32 v103, v23
	s_wait_alu 0xfffd
	v_add_co_ci_u32_e32 v37, vcc_lo, s5, v31, vcc_lo
	v_lshlrev_b64_e32 v[44:45], 4, v[106:107]
	v_add_co_u32 v40, vcc_lo, s4, v40
	v_mov_b32_e32 v105, v23
	s_wait_alu 0xfffd
	v_add_co_ci_u32_e32 v41, vcc_lo, s5, v41, vcc_lo
	v_lshlrev_b64_e32 v[46:47], 4, v[102:103]
	v_add_co_u32 v54, vcc_lo, s4, v42
	s_wait_alu 0xfffd
	v_add_co_ci_u32_e32 v55, vcc_lo, s5, v43, vcc_lo
	v_lshlrev_b64_e32 v[52:53], 4, v[104:105]
	v_add_co_u32 v56, vcc_lo, s4, v44
	s_clause 0x4
	global_load_b128 v[48:51], v[28:29], off offset:25440
	global_load_b128 v[28:31], v[24:25], off offset:25440
	global_load_b128 v[24:27], v[26:27], off offset:25440
	global_load_b128 v[32:35], v[32:33], off offset:25440
	global_load_b128 v[36:39], v[36:37], off offset:25440
	s_wait_alu 0xfffd
	v_add_co_ci_u32_e32 v57, vcc_lo, s5, v45, vcc_lo
	v_add_co_u32 v60, vcc_lo, s4, v46
	s_wait_alu 0xfffd
	v_add_co_ci_u32_e32 v61, vcc_lo, s5, v47, vcc_lo
	v_add_co_u32 v52, vcc_lo, s4, v52
	s_wait_alu 0xfffd
	v_add_co_ci_u32_e32 v53, vcc_lo, s5, v53, vcc_lo
	s_clause 0x4
	global_load_b128 v[40:43], v[40:41], off offset:25440
	global_load_b128 v[44:47], v[54:55], off offset:25440
	;; [unrolled: 1-line block ×5, first 2 shown]
	v_mad_co_u64_u32 v[122:123], null, s8, v96, 0
	ds_load_b64 v[104:105], v65
	ds_load_b64 v[120:121], v173 offset:24320
	ds_load_2addr_b64 v[64:67], v64 offset0:32 offset1:192
	ds_load_2addr_b64 v[68:71], v68 offset0:32 offset1:192
	ds_load_b64 v[92:93], v177
	ds_load_b64 v[100:101], v20
	ds_load_2addr_b64 v[112:115], v118 offset0:32 offset1:192
	ds_load_b64 v[94:95], v22
	ds_load_b64 v[108:109], v21
	;; [unrolled: 1-line block ×5, first 2 shown]
	ds_load_2addr_b64 v[116:119], v117 offset0:32 offset1:192
	ds_load_2addr_stride64_b64 v[20:23], v173 offset1:25
	v_mad_co_u64_u32 v[124:125], null, s8, v170, 0
	v_mad_co_u64_u32 v[126:127], null, s8, v160, 0
	;; [unrolled: 1-line block ×7, first 2 shown]
	v_mul_hi_u32 v151, 0x51eb851f, v161
	v_mad_co_u64_u32 v[138:139], null, s8, v157, 0
	v_mad_co_u64_u32 v[140:141], null, s8, v166, 0
	v_mul_hi_u32 v152, 0x51eb851f, v158
	v_mad_co_u64_u32 v[142:143], null, s8, v162, 0
	v_mad_co_u64_u32 v[144:145], null, s8, v167, 0
	;; [unrolled: 1-line block ×4, first 2 shown]
	v_mul_hi_u32 v153, 0x51eb851f, v163
	v_add_co_u32 v97, vcc_lo, s10, v98
	s_wait_alu 0xfffd
	v_add_co_ci_u32_e32 v98, vcc_lo, s11, v99, vcc_lo
	v_mov_b32_e32 v99, v123
	v_mov_b32_e32 v123, v125
	;; [unrolled: 1-line block ×8, first 2 shown]
	v_lshrrev_b32_e32 v176, 9, v151
	v_mov_b32_e32 v137, v139
	v_mov_b32_e32 v139, v141
	v_lshrrev_b32_e32 v177, 9, v152
	v_mov_b32_e32 v141, v143
	v_mov_b32_e32 v143, v145
	;; [unrolled: 1-line block ×4, first 2 shown]
	v_lshrrev_b32_e32 v149, 9, v153
	s_wait_dscnt 0x8
	v_mad_co_u64_u32 v[152:153], null, s9, v96, v[99:100]
	v_mad_co_u64_u32 v[153:154], null, s9, v170, v[123:124]
	;; [unrolled: 1-line block ×5, first 2 shown]
	v_mad_u32_u24 v169, 0x640, v176, v161
	v_mad_co_u64_u32 v[172:173], null, s9, v164, v[133:134]
	v_mad_co_u64_u32 v[154:155], null, s9, v160, v[125:126]
	;; [unrolled: 1-line block ×6, first 2 shown]
	v_mad_u32_u24 v175, 0x640, v177, v158
	v_mad_co_u64_u32 v[157:158], null, s9, v162, v[141:142]
	v_mad_co_u64_u32 v[161:162], null, s9, v165, v[147:148]
	v_mad_u32_u24 v176, 0x640, v149, v163
	v_mad_co_u64_u32 v[162:163], null, s8, v169, 0
	v_add_nc_u32_e32 v186, 0x640, v169
	v_mad_co_u64_u32 v[164:165], null, s8, v175, 0
	s_delay_alu instid0(VALU_DEP_4)
	v_mad_co_u64_u32 v[166:167], null, s8, v176, 0
	v_add_nc_u32_e32 v188, 0x640, v176
	v_mov_b32_e32 v96, v163
	v_mad_co_u64_u32 v[155:156], null, s9, v156, v[145:146]
	v_mov_b32_e32 v131, v159
	v_mov_b32_e32 v145, v160
	s_delay_alu instid0(VALU_DEP_4)
	v_mad_co_u64_u32 v[159:160], null, s9, v169, v[96:97]
	v_mov_b32_e32 v123, v152
	v_mov_b32_e32 v125, v153
	;; [unrolled: 1-line block ×3, first 2 shown]
	v_mad_co_u64_u32 v[152:153], null, s8, v186, 0
	v_mad_co_u64_u32 v[156:157], null, s8, v188, 0
	v_dual_mov_b32 v158, v167 :: v_dual_mov_b32 v135, v172
	v_mov_b32_e32 v139, v173
	s_delay_alu instid0(VALU_DEP_4)
	v_dual_mov_b32 v99, v165 :: v_dual_mov_b32 v96, v153
	v_mov_b32_e32 v129, v170
	v_mov_b32_e32 v133, v171
	;; [unrolled: 1-line block ×3, first 2 shown]
	v_mad_co_u64_u32 v[167:168], null, s9, v176, v[158:159]
	v_mov_b32_e32 v153, v157
	v_add_nc_u32_e32 v187, 0x640, v175
	v_mov_b32_e32 v141, v174
	v_mov_b32_e32 v149, v161
	v_mad_co_u64_u32 v[160:161], null, s9, v175, v[99:100]
	ds_load_b64 v[150:151], v150
	v_lshlrev_b64_e32 v[122:123], 4, v[122:123]
	v_mov_b32_e32 v127, v154
	v_lshlrev_b64_e32 v[124:125], 4, v[124:125]
	v_lshlrev_b64_e32 v[128:129], 4, v[128:129]
	;; [unrolled: 1-line block ×5, first 2 shown]
	v_add_co_u32 v122, vcc_lo, v97, v122
	s_wait_alu 0xfffd
	v_add_co_ci_u32_e32 v123, vcc_lo, v98, v123, vcc_lo
	v_add_co_u32 v124, vcc_lo, v97, v124
	s_wait_alu 0xfffd
	v_add_co_ci_u32_e32 v125, vcc_lo, v98, v125, vcc_lo
	;; [unrolled: 3-line block ×4, first 2 shown]
	v_lshlrev_b64_e32 v[134:135], 4, v[134:135]
	v_add_co_u32 v130, vcc_lo, v97, v130
	s_wait_alu 0xfffd
	v_add_co_ci_u32_e32 v131, vcc_lo, v98, v131, vcc_lo
	v_lshlrev_b64_e32 v[136:137], 4, v[136:137]
	v_lshlrev_b64_e32 v[138:139], 4, v[138:139]
	;; [unrolled: 1-line block ×4, first 2 shown]
	v_mov_b32_e32 v147, v155
	v_lshlrev_b64_e32 v[144:145], 4, v[144:145]
	v_mad_co_u64_u32 v[154:155], null, s8, v187, 0
	v_mov_b32_e32 v163, v159
	s_delay_alu instid0(VALU_DEP_4)
	v_lshlrev_b64_e32 v[146:147], 4, v[146:147]
	v_lshlrev_b64_e32 v[148:149], 4, v[148:149]
	v_mov_b32_e32 v165, v160
	v_mov_b32_e32 v99, v155
	s_wait_loadcnt 0x9
	v_mul_f64_e32 v[168:169], v[90:91], v[50:51]
	s_wait_loadcnt 0x6
	v_mul_f64_e32 v[170:171], v[12:13], v[34:35]
	;; [unrolled: 2-line block ×3, first 2 shown]
	s_wait_dscnt 0x1
	v_mul_f64_e32 v[38:39], v[22:23], v[38:39]
	v_mul_f64_e32 v[34:35], v[116:117], v[34:35]
	;; [unrolled: 1-line block ×7, first 2 shown]
	s_wait_loadcnt 0x2
	v_mul_f64_e32 v[180:181], v[4:5], v[58:59]
	s_wait_loadcnt 0x1
	v_mul_f64_e32 v[182:183], v[10:11], v[62:63]
	v_mul_f64_e32 v[62:63], v[114:115], v[62:63]
	;; [unrolled: 1-line block ×3, first 2 shown]
	s_wait_loadcnt 0x0
	v_mul_f64_e32 v[184:185], v[6:7], v[54:55]
	v_mul_f64_e32 v[54:55], v[70:71], v[54:55]
	;; [unrolled: 1-line block ×6, first 2 shown]
	v_fma_f64 v[120:121], v[48:49], v[120:121], -v[168:169]
	v_fma_f64 v[22:23], v[36:37], v[22:23], -v[172:173]
	v_fma_f64 v[36:37], v[2:3], v[36:37], v[38:39]
	v_fma_f64 v[38:39], v[32:33], v[116:117], -v[170:171]
	v_fma_f64 v[32:33], v[12:13], v[32:33], v[34:35]
	v_fma_f64 v[48:49], v[90:91], v[48:49], v[50:51]
	v_fma_f64 v[50:51], v[28:29], v[118:119], -v[157:158]
	v_fma_f64 v[14:15], v[14:15], v[28:29], v[30:31]
	v_fma_f64 v[28:29], v[24:25], v[112:113], -v[174:175]
	v_fma_f64 v[26:27], v[8:9], v[24:25], v[26:27]
	v_add_co_u32 v90, vcc_lo, v97, v132
	v_fma_f64 v[30:31], v[60:61], v[114:115], -v[182:183]
	v_fma_f64 v[34:35], v[10:11], v[60:61], v[62:63]
	v_fma_f64 v[60:61], v[56:57], v[68:69], -v[180:181]
	v_fma_f64 v[56:57], v[4:5], v[56:57], v[58:59]
	;; [unrolled: 2-line block ×5, first 2 shown]
	s_wait_alu 0xfffd
	v_add_co_ci_u32_e32 v91, vcc_lo, v98, v133, vcc_lo
	v_add_co_u32 v132, vcc_lo, v97, v134
	s_wait_alu 0xfffd
	v_add_co_ci_u32_e32 v133, vcc_lo, v98, v135, vcc_lo
	v_add_co_u32 v134, vcc_lo, v97, v136
	;; [unrolled: 3-line block ×4, first 2 shown]
	v_add_f64_e64 v[4:5], v[104:105], -v[120:121]
	v_add_f64_e64 v[8:9], v[20:21], -v[22:23]
	;; [unrolled: 1-line block ×3, first 2 shown]
	s_wait_dscnt 0x0
	v_add_f64_e64 v[12:13], v[150:151], -v[38:39]
	v_add_f64_e64 v[10:11], v[86:87], -v[32:33]
	;; [unrolled: 1-line block ×7, first 2 shown]
	s_wait_alu 0xfffd
	v_add_co_ci_u32_e32 v139, vcc_lo, v98, v141, vcc_lo
	v_add_f64_e64 v[28:29], v[106:107], -v[30:31]
	v_add_f64_e64 v[26:27], v[84:85], -v[34:35]
	;; [unrolled: 1-line block ×10, first 2 shown]
	v_add_co_u32 v70, vcc_lo, v97, v142
	s_wait_alu 0xfffd
	v_add_co_ci_u32_e32 v71, vcc_lo, v98, v143, vcc_lo
	v_add_co_u32 v112, vcc_lo, v97, v144
	s_wait_alu 0xfffd
	v_add_co_ci_u32_e32 v113, vcc_lo, v98, v145, vcc_lo
	v_add_co_u32 v114, vcc_lo, v97, v146
	v_lshlrev_b64_e32 v[18:19], 4, v[162:163]
	s_wait_alu 0xfffd
	v_add_co_ci_u32_e32 v115, vcc_lo, v98, v147, vcc_lo
	v_add_co_u32 v116, vcc_lo, v97, v148
	s_wait_alu 0xfffd
	v_add_co_ci_u32_e32 v117, vcc_lo, v98, v149, vcc_lo
	v_add_co_u32 v146, vcc_lo, v97, v18
	v_mad_co_u64_u32 v[62:63], null, s9, v187, v[99:100]
	v_mad_co_u64_u32 v[63:64], null, s9, v188, v[153:154]
	s_wait_alu 0xfffd
	v_add_co_ci_u32_e32 v147, vcc_lo, v98, v19, vcc_lo
	v_fma_f64 v[20:21], v[20:21], 2.0, -v[8:9]
	v_fma_f64 v[18:19], v[0:1], 2.0, -v[6:7]
	;; [unrolled: 1-line block ×8, first 2 shown]
	v_mov_b32_e32 v155, v62
	v_mov_b32_e32 v157, v63
	v_fma_f64 v[64:65], v[106:107], 2.0, -v[28:29]
	v_fma_f64 v[62:63], v[84:85], 2.0, -v[26:27]
	v_mad_co_u64_u32 v[46:47], null, s9, v186, v[96:97]
	v_fma_f64 v[68:69], v[100:101], 2.0, -v[32:33]
	v_fma_f64 v[66:67], v[80:81], 2.0, -v[30:31]
	;; [unrolled: 1-line block ×8, first 2 shown]
	v_mov_b32_e32 v153, v46
	v_lshlrev_b64_e32 v[118:119], 4, v[164:165]
	v_fma_f64 v[48:49], v[104:105], 2.0, -v[4:5]
	v_fma_f64 v[46:47], v[78:79], 2.0, -v[2:3]
	v_lshlrev_b64_e32 v[120:121], 4, v[166:167]
	v_lshlrev_b64_e32 v[140:141], 4, v[152:153]
	;; [unrolled: 1-line block ×3, first 2 shown]
	v_add_co_u32 v0, vcc_lo, v97, v118
	s_wait_alu 0xfffd
	v_add_co_ci_u32_e32 v1, vcc_lo, v98, v119, vcc_lo
	v_add_co_u32 v76, vcc_lo, v97, v120
	s_wait_alu 0xfffd
	v_add_co_ci_u32_e32 v77, vcc_lo, v98, v121, vcc_lo
	v_lshlrev_b64_e32 v[144:145], 4, v[156:157]
	v_add_co_u32 v78, vcc_lo, v97, v140
	s_wait_alu 0xfffd
	v_add_co_ci_u32_e32 v79, vcc_lo, v98, v141, vcc_lo
	v_add_co_u32 v88, vcc_lo, v97, v142
	s_wait_alu 0xfffd
	v_add_co_ci_u32_e32 v89, vcc_lo, v98, v143, vcc_lo
	;; [unrolled: 3-line block ×3, first 2 shown]
	s_clause 0x13
	global_store_b128 v[122:123], v[18:21], off
	global_store_b128 v[124:125], v[6:9], off
	;; [unrolled: 1-line block ×20, first 2 shown]
.LBB0_15:
	s_nop 0
	s_sendmsg sendmsg(MSG_DEALLOC_VGPRS)
	s_endpgm
	.section	.rodata,"a",@progbits
	.p2align	6, 0x0
	.amdhsa_kernel fft_rtc_back_len3200_factors_10_10_4_4_2_wgs_160_tpt_160_halfLds_dp_ip_CI_sbrr_dirReg
		.amdhsa_group_segment_fixed_size 0
		.amdhsa_private_segment_fixed_size 0
		.amdhsa_kernarg_size 88
		.amdhsa_user_sgpr_count 2
		.amdhsa_user_sgpr_dispatch_ptr 0
		.amdhsa_user_sgpr_queue_ptr 0
		.amdhsa_user_sgpr_kernarg_segment_ptr 1
		.amdhsa_user_sgpr_dispatch_id 0
		.amdhsa_user_sgpr_private_segment_size 0
		.amdhsa_wavefront_size32 1
		.amdhsa_uses_dynamic_stack 0
		.amdhsa_enable_private_segment 0
		.amdhsa_system_sgpr_workgroup_id_x 1
		.amdhsa_system_sgpr_workgroup_id_y 0
		.amdhsa_system_sgpr_workgroup_id_z 0
		.amdhsa_system_sgpr_workgroup_info 0
		.amdhsa_system_vgpr_workitem_id 0
		.amdhsa_next_free_vgpr 208
		.amdhsa_next_free_sgpr 35
		.amdhsa_reserve_vcc 1
		.amdhsa_float_round_mode_32 0
		.amdhsa_float_round_mode_16_64 0
		.amdhsa_float_denorm_mode_32 3
		.amdhsa_float_denorm_mode_16_64 3
		.amdhsa_fp16_overflow 0
		.amdhsa_workgroup_processor_mode 1
		.amdhsa_memory_ordered 1
		.amdhsa_forward_progress 0
		.amdhsa_round_robin_scheduling 0
		.amdhsa_exception_fp_ieee_invalid_op 0
		.amdhsa_exception_fp_denorm_src 0
		.amdhsa_exception_fp_ieee_div_zero 0
		.amdhsa_exception_fp_ieee_overflow 0
		.amdhsa_exception_fp_ieee_underflow 0
		.amdhsa_exception_fp_ieee_inexact 0
		.amdhsa_exception_int_div_zero 0
	.end_amdhsa_kernel
	.text
.Lfunc_end0:
	.size	fft_rtc_back_len3200_factors_10_10_4_4_2_wgs_160_tpt_160_halfLds_dp_ip_CI_sbrr_dirReg, .Lfunc_end0-fft_rtc_back_len3200_factors_10_10_4_4_2_wgs_160_tpt_160_halfLds_dp_ip_CI_sbrr_dirReg
                                        ; -- End function
	.section	.AMDGPU.csdata,"",@progbits
; Kernel info:
; codeLenInByte = 15572
; NumSgprs: 37
; NumVgprs: 208
; ScratchSize: 0
; MemoryBound: 1
; FloatMode: 240
; IeeeMode: 1
; LDSByteSize: 0 bytes/workgroup (compile time only)
; SGPRBlocks: 4
; VGPRBlocks: 25
; NumSGPRsForWavesPerEU: 37
; NumVGPRsForWavesPerEU: 208
; Occupancy: 7
; WaveLimiterHint : 1
; COMPUTE_PGM_RSRC2:SCRATCH_EN: 0
; COMPUTE_PGM_RSRC2:USER_SGPR: 2
; COMPUTE_PGM_RSRC2:TRAP_HANDLER: 0
; COMPUTE_PGM_RSRC2:TGID_X_EN: 1
; COMPUTE_PGM_RSRC2:TGID_Y_EN: 0
; COMPUTE_PGM_RSRC2:TGID_Z_EN: 0
; COMPUTE_PGM_RSRC2:TIDIG_COMP_CNT: 0
	.text
	.p2alignl 7, 3214868480
	.fill 96, 4, 3214868480
	.type	__hip_cuid_ad900a26ba971572,@object ; @__hip_cuid_ad900a26ba971572
	.section	.bss,"aw",@nobits
	.globl	__hip_cuid_ad900a26ba971572
__hip_cuid_ad900a26ba971572:
	.byte	0                               ; 0x0
	.size	__hip_cuid_ad900a26ba971572, 1

	.ident	"AMD clang version 19.0.0git (https://github.com/RadeonOpenCompute/llvm-project roc-6.4.0 25133 c7fe45cf4b819c5991fe208aaa96edf142730f1d)"
	.section	".note.GNU-stack","",@progbits
	.addrsig
	.addrsig_sym __hip_cuid_ad900a26ba971572
	.amdgpu_metadata
---
amdhsa.kernels:
  - .args:
      - .actual_access:  read_only
        .address_space:  global
        .offset:         0
        .size:           8
        .value_kind:     global_buffer
      - .offset:         8
        .size:           8
        .value_kind:     by_value
      - .actual_access:  read_only
        .address_space:  global
        .offset:         16
        .size:           8
        .value_kind:     global_buffer
      - .actual_access:  read_only
        .address_space:  global
        .offset:         24
        .size:           8
        .value_kind:     global_buffer
      - .offset:         32
        .size:           8
        .value_kind:     by_value
      - .actual_access:  read_only
        .address_space:  global
        .offset:         40
        .size:           8
        .value_kind:     global_buffer
      - .actual_access:  read_only
        .address_space:  global
        .offset:         48
        .size:           8
        .value_kind:     global_buffer
      - .offset:         56
        .size:           4
        .value_kind:     by_value
      - .actual_access:  read_only
        .address_space:  global
        .offset:         64
        .size:           8
        .value_kind:     global_buffer
      - .actual_access:  read_only
        .address_space:  global
        .offset:         72
        .size:           8
        .value_kind:     global_buffer
      - .address_space:  global
        .offset:         80
        .size:           8
        .value_kind:     global_buffer
    .group_segment_fixed_size: 0
    .kernarg_segment_align: 8
    .kernarg_segment_size: 88
    .language:       OpenCL C
    .language_version:
      - 2
      - 0
    .max_flat_workgroup_size: 160
    .name:           fft_rtc_back_len3200_factors_10_10_4_4_2_wgs_160_tpt_160_halfLds_dp_ip_CI_sbrr_dirReg
    .private_segment_fixed_size: 0
    .sgpr_count:     37
    .sgpr_spill_count: 0
    .symbol:         fft_rtc_back_len3200_factors_10_10_4_4_2_wgs_160_tpt_160_halfLds_dp_ip_CI_sbrr_dirReg.kd
    .uniform_work_group_size: 1
    .uses_dynamic_stack: false
    .vgpr_count:     208
    .vgpr_spill_count: 0
    .wavefront_size: 32
    .workgroup_processor_mode: 1
amdhsa.target:   amdgcn-amd-amdhsa--gfx1201
amdhsa.version:
  - 1
  - 2
...

	.end_amdgpu_metadata
